;; amdgpu-corpus repo=ROCm/aiter kind=harvested arch=n/a opt=n/a

/root/src/amdgpu-assembly/repos/ROCm__aiter/hsa/gfx942/fmoe_2stages/fmoe_stage1_bf16_pertokenFp8_g1u1_160x64_pf3.co:	file format elf64-amdgpu

Disassembly of section .text:

0000000000002a00 <_ZN5aiter44fmoe_stage1_bf16_pertokenFp8_g1u1_160x64_pf3E>:
	s_and_b32 s1, s1, 0xffff                                   // 000000002A00: 8601FF01 0000FFFF
	s_load_dwordx2 s[8:9], s[0:1], 0x0                         // 000000002A08: C0060200 00000000
	s_load_dwordx2 s[20:21], s[0:1], 0x10                      // 000000002A10: C0060500 00000010
	s_load_dwordx2 s[24:25], s[0:1], 0x20                      // 000000002A18: C0060600 00000020
	s_load_dwordx2 s[48:49], s[0:1], 0x30                      // 000000002A20: C0060C00 00000030
	s_load_dwordx2 s[28:29], s[0:1], 0x40                      // 000000002A28: C0060700 00000040
	s_load_dwordx2 s[32:33], s[0:1], 0x50                      // 000000002A30: C0060800 00000050
	s_load_dwordx2 s[36:37], s[0:1], 0x60                      // 000000002A38: C0060900 00000060
	s_load_dwordx2 s[12:13], s[0:1], 0x70                      // 000000002A40: C0060300 00000070
	s_load_dwordx2 s[44:45], s[0:1], 0x80                      // 000000002A48: C0060B00 00000080
	s_mov_b32 s89, 0                                           // 000000002A50: BED90080
	s_load_dword s64, s[0:1], 0x90                             // 000000002A54: C0021000 00000090
	s_load_dword s65, s[0:1], 0xa0                             // 000000002A5C: C0021040 000000A0
	s_load_dword s66, s[0:1], 0xb0                             // 000000002A64: C0021080 000000B0
	s_load_dword s67, s[0:1], 0xc0                             // 000000002A6C: C00210C0 000000C0
	s_load_dword s68, s[0:1], 0xd0                             // 000000002A74: C0021100 000000D0
	s_load_dword s69, s[0:1], 0xe0                             // 000000002A7C: C0021140 000000E0
	s_load_dword s71, s[0:1], 0xf0                             // 000000002A84: C00211C0 000000F0
	s_load_dword s72, s[0:1], 0x100                            // 000000002A8C: C0021200 00000100
	s_load_dword s74, s[0:1], 0x110                            // 000000002A94: C0021280 00000110
	s_load_dword s76, s[0:1], 0x120                            // 000000002A9C: C0021300 00000120
	s_load_dword s56, s[0:1], 0x130                            // 000000002AA4: C0020E00 00000130
	s_load_dword s88, s[0:1], 0x140                            // 000000002AAC: C0021600 00000140
	s_load_dword s89, s[0:1], 0x150                            // 000000002AB4: C0021640 00000150
	v_lshrrev_b32_e32 v1, 10, v0                               // 000000002ABC: 2002008A
	v_lshrrev_b32_e32 v2, 10, v1                               // 000000002AC0: 2004028A
	v_and_b32_e32 v2, 0x3ff, v2                                // 000000002AC4: 260404FF 000003FF
	v_and_b32_e32 v1, 0x3ff, v1                                // 000000002ACC: 260202FF 000003FF
	v_and_b32_e32 v0, 0x3ff, v0                                // 000000002AD4: 260000FF 000003FF
	v_lshrrev_b32_e32 v3, 6, v0                                // 000000002ADC: 20060086
	v_and_b32_e32 v0, 63, v0                                   // 000000002AE0: 260000BF
	s_mov_b32 s2, s2                                           // 000000002AE4: BE820002
	s_mov_b32 s3, s3                                           // 000000002AE8: BE830003
	s_mov_b32 s4, s4                                           // 000000002AEC: BE840004
	v_readfirstlane_b32 s7, v3                                 // 000000002AF0: 7E0E0503
	s_waitcnt lgkmcnt(0)                                       // 000000002AF4: BF8CC07F
	s_and_b32 s49, s49, 0xffff                                 // 000000002AF8: 8631FF31 0000FFFF
	s_load_dword s48, s[48:49], 0x0                            // 000000002B00: C0020C18 00000000
	s_and_b32 s45, s45, 0xffff                                 // 000000002B08: 862DFF2D 0000FFFF
	s_and_b32 s9, s9, 0xffff                                   // 000000002B10: 8609FF09 0000FFFF
	s_mul_i32 s60, s66, s68                                    // 000000002B18: 923C4442
	s_mul_i32 s61, s66, 4                                      // 000000002B1C: 923D8442
	s_mov_b32 s22, s60                                         // 000000002B20: BE96003C
	s_mov_b32 s26, -16                                         // 000000002B24: BE9A00D0
	s_mov_b32 s30, s61                                         // 000000002B28: BE9E003D
	s_mov_b32 s14, 0x280                                       // 000000002B2C: BE8E00FF 00000280
	s_mov_b32 s38, -16                                         // 000000002B34: BEA600D0
	s_mov_b32 s10, -16                                         // 000000002B38: BE8A00D0
	s_mov_b32 s34, 0x100                                       // 000000002B3C: BEA200FF 00000100
	s_mov_b32 s23, 0x20000                                     // 000000002B44: BE9700FF 00020000
	s_mov_b32 s27, 0x20000                                     // 000000002B4C: BE9B00FF 00020000
	s_mov_b32 s31, 0x20000                                     // 000000002B54: BE9F00FF 00020000
	s_mov_b32 s35, 0x20000                                     // 000000002B5C: BEA300FF 00020000
	s_mov_b32 s15, 0x20000                                     // 000000002B64: BE8F00FF 00020000
	s_mov_b32 s39, 0x20000                                     // 000000002B6C: BEA700FF 00020000
	s_mov_b32 s11, 0x20000                                     // 000000002B74: BE8B00FF 00020000
	s_and_b32 s21, s21, 0xffff                                 // 000000002B7C: 8615FF15 0000FFFF
	s_and_b32 s25, s25, 0xffff                                 // 000000002B84: 8619FF19 0000FFFF
	s_and_b32 s29, s29, 0xffff                                 // 000000002B8C: 861DFF1D 0000FFFF
	s_and_b32 s33, s33, 0xffff                                 // 000000002B94: 8621FF21 0000FFFF
	s_and_b32 s13, s13, 0xffff                                 // 000000002B9C: 860DFF0D 0000FFFF
	s_and_b32 s37, s37, 0xffff                                 // 000000002BA4: 8625FF25 0000FFFF
	s_or_b32 s21, s21, 0x40000                                 // 000000002BAC: 8715FF15 00040000
	s_or_b32 s25, s25, 0x40000                                 // 000000002BB4: 8719FF19 00040000
	s_or_b32 s29, s29, 0x40000                                 // 000000002BBC: 871DFF1D 00040000
	s_or_b32 s33, s33, 0x40000                                 // 000000002BC4: 8721FF21 00040000
	s_or_b32 s13, s13, 0x40000                                 // 000000002BCC: 870DFF0D 00040000
	s_or_b32 s37, s37, 0x40000                                 // 000000002BD4: 8725FF25 00040000
	v_accvgpr_write_b32 a183, 0                                // 000000002BDC: D3D940B7 18000080
	v_mov_b32_e32 v171, 0                                      // 000000002BE4: 7F560280
	s_waitcnt lgkmcnt(0)                                       // 000000002BE8: BF8CC07F
	s_mul_i32 s60, s3, 0xa0                                    // 000000002BEC: 923CFF03 000000A0
	s_cmp_lt_i32 s60, s48                                      // 000000002BF4: BF04303C
	s_cbranch_scc0 label_342B                                  // 000000002BF8: BF8433A9
	s_mov_b32 s80, 0                                           // 000000002BFC: BED00080
	s_lshr_b32 s81, s64, s88                                   // 000000002C00: 8F515840
	s_mul_i32 s60, s3, 4                                       // 000000002C04: 923C8403
	s_add_u32 s44, s60, s44                                    // 000000002C08: 802C2C3C
	s_addc_u32 s45, 0, s45                                     // 000000002C0C: 822D2D80
	s_load_dword s5, s[44:45], 0x0                             // 000000002C10: C0020156 00000000
	s_mul_i32 s60, s3, 0xa0                                    // 000000002C18: 923CFF03 000000A0
	s_mul_i32 s60, 4, s60                                      // 000000002C20: 923C3C84
	s_add_u32 s12, s60, s12                                    // 000000002C24: 800C0C3C
	s_addc_u32 s13, 0, s13                                     // 000000002C28: 820D0D80
	v_and_b32_e32 v4, 15, v0                                   // 000000002C2C: 2608008F
	v_lshlrev_b32_e32 v4, 2, v4                                // 000000002C30: 24080882
	buffer_load_dword v30, v4, s[12:15], 0 offen               // 000000002C34: E0501000 80031E04
	v_add_u32_e32 v4, 64, v4                                   // 000000002C3C: 680808C0
	buffer_load_dword v31, v4, s[12:15], 0 offen               // 000000002C40: E0501000 80031F04
	v_add_u32_e32 v4, 64, v4                                   // 000000002C48: 680808C0
	buffer_load_dword v32, v4, s[12:15], 0 offen               // 000000002C4C: E0501000 80032004
	v_add_u32_e32 v4, 64, v4                                   // 000000002C54: 680808C0
	buffer_load_dword v33, v4, s[12:15], 0 offen               // 000000002C58: E0501000 80032104
	v_add_u32_e32 v4, 64, v4                                   // 000000002C60: 680808C0
	buffer_load_dword v34, v4, s[12:15], 0 offen               // 000000002C64: E0501000 80032204
	v_add_u32_e32 v4, 64, v4                                   // 000000002C6C: 680808C0
	buffer_load_dword v35, v4, s[12:15], 0 offen               // 000000002C70: E0501000 80032304
	v_add_u32_e32 v4, 64, v4                                   // 000000002C78: 680808C0
	buffer_load_dword v36, v4, s[12:15], 0 offen               // 000000002C7C: E0501000 80032404
	v_add_u32_e32 v4, 64, v4                                   // 000000002C84: 680808C0
	buffer_load_dword v37, v4, s[12:15], 0 offen               // 000000002C88: E0501000 80032504
	v_add_u32_e32 v4, 64, v4                                   // 000000002C90: 680808C0
	buffer_load_dword v38, v4, s[12:15], 0 offen               // 000000002C94: E0501000 80032604
	v_add_u32_e32 v4, 64, v4                                   // 000000002C9C: 680808C0
	buffer_load_dword v39, v4, s[12:15], 0 offen               // 000000002CA0: E0501000 80032704
	v_add_u32_e32 v4, 64, v4                                   // 000000002CA8: 680808C0
	s_mul_i32 s60, 4, s7                                       // 000000002CAC: 923C0784
	v_lshlrev_b32_e32 v4, 4, v0                                // 000000002CB0: 24080084
	v_add_u32_e32 v4, s60, v4                                  // 000000002CB4: 6808083C
	buffer_load_dword v3, v4, s[12:15], 0 offen                // 000000002CB8: E0501000 80030304
	v_mov_b32_e32 v92, 0                                       // 000000002CC0: 7EB80280
	v_mov_b32_e32 v132, 0                                      // 000000002CC4: 7F080280
	v_mov_b32_e32 v93, 0                                       // 000000002CC8: 7EBA0280
	v_mov_b32_e32 v133, 0                                      // 000000002CCC: 7F0A0280
	v_mov_b32_e32 v94, 0                                       // 000000002CD0: 7EBC0280
	v_mov_b32_e32 v134, 0                                      // 000000002CD4: 7F0C0280
	v_mov_b32_e32 v95, 0                                       // 000000002CD8: 7EBE0280
	v_mov_b32_e32 v135, 0                                      // 000000002CDC: 7F0E0280
	v_mov_b32_e32 v96, 0                                       // 000000002CE0: 7EC00280
	v_mov_b32_e32 v136, 0                                      // 000000002CE4: 7F100280
	v_mov_b32_e32 v97, 0                                       // 000000002CE8: 7EC20280
	v_mov_b32_e32 v137, 0                                      // 000000002CEC: 7F120280
	v_mov_b32_e32 v98, 0                                       // 000000002CF0: 7EC40280
	v_mov_b32_e32 v138, 0                                      // 000000002CF4: 7F140280
	v_mov_b32_e32 v99, 0                                       // 000000002CF8: 7EC60280
	v_mov_b32_e32 v139, 0                                      // 000000002CFC: 7F160280
	v_mov_b32_e32 v100, 0                                      // 000000002D00: 7EC80280
	v_mov_b32_e32 v140, 0                                      // 000000002D04: 7F180280
	v_mov_b32_e32 v101, 0                                      // 000000002D08: 7ECA0280
	v_mov_b32_e32 v141, 0                                      // 000000002D0C: 7F1A0280
	v_mov_b32_e32 v102, 0                                      // 000000002D10: 7ECC0280
	v_mov_b32_e32 v142, 0                                      // 000000002D14: 7F1C0280
	v_mov_b32_e32 v103, 0                                      // 000000002D18: 7ECE0280
	v_mov_b32_e32 v143, 0                                      // 000000002D1C: 7F1E0280
	v_mov_b32_e32 v104, 0                                      // 000000002D20: 7ED00280
	v_mov_b32_e32 v144, 0                                      // 000000002D24: 7F200280
	v_mov_b32_e32 v105, 0                                      // 000000002D28: 7ED20280
	v_mov_b32_e32 v145, 0                                      // 000000002D2C: 7F220280
	v_mov_b32_e32 v106, 0                                      // 000000002D30: 7ED40280
	v_mov_b32_e32 v146, 0                                      // 000000002D34: 7F240280
	v_mov_b32_e32 v107, 0                                      // 000000002D38: 7ED60280
	v_mov_b32_e32 v147, 0                                      // 000000002D3C: 7F260280
	v_mov_b32_e32 v108, 0                                      // 000000002D40: 7ED80280
	v_mov_b32_e32 v148, 0                                      // 000000002D44: 7F280280
	v_mov_b32_e32 v109, 0                                      // 000000002D48: 7EDA0280
	v_mov_b32_e32 v149, 0                                      // 000000002D4C: 7F2A0280
	v_mov_b32_e32 v110, 0                                      // 000000002D50: 7EDC0280
	v_mov_b32_e32 v150, 0                                      // 000000002D54: 7F2C0280
	v_mov_b32_e32 v111, 0                                      // 000000002D58: 7EDE0280
	v_mov_b32_e32 v151, 0                                      // 000000002D5C: 7F2E0280
	v_mov_b32_e32 v112, 0                                      // 000000002D60: 7EE00280
	v_mov_b32_e32 v152, 0                                      // 000000002D64: 7F300280
	v_mov_b32_e32 v113, 0                                      // 000000002D68: 7EE20280
	v_mov_b32_e32 v153, 0                                      // 000000002D6C: 7F320280
	v_mov_b32_e32 v114, 0                                      // 000000002D70: 7EE40280
	v_mov_b32_e32 v154, 0                                      // 000000002D74: 7F340280
	v_mov_b32_e32 v115, 0                                      // 000000002D78: 7EE60280
	v_mov_b32_e32 v155, 0                                      // 000000002D7C: 7F360280
	v_mov_b32_e32 v116, 0                                      // 000000002D80: 7EE80280
	v_mov_b32_e32 v156, 0                                      // 000000002D84: 7F380280
	v_mov_b32_e32 v117, 0                                      // 000000002D88: 7EEA0280
	v_mov_b32_e32 v157, 0                                      // 000000002D8C: 7F3A0280
	v_mov_b32_e32 v118, 0                                      // 000000002D90: 7EEC0280
	v_mov_b32_e32 v158, 0                                      // 000000002D94: 7F3C0280
	v_mov_b32_e32 v119, 0                                      // 000000002D98: 7EEE0280
	v_mov_b32_e32 v159, 0                                      // 000000002D9C: 7F3E0280
	v_mov_b32_e32 v120, 0                                      // 000000002DA0: 7EF00280
	v_mov_b32_e32 v160, 0                                      // 000000002DA4: 7F400280
	v_mov_b32_e32 v121, 0                                      // 000000002DA8: 7EF20280
	v_mov_b32_e32 v161, 0                                      // 000000002DAC: 7F420280
	v_mov_b32_e32 v122, 0                                      // 000000002DB0: 7EF40280
	v_mov_b32_e32 v162, 0                                      // 000000002DB4: 7F440280
	v_mov_b32_e32 v123, 0                                      // 000000002DB8: 7EF60280
	v_mov_b32_e32 v163, 0                                      // 000000002DBC: 7F460280
	v_mov_b32_e32 v124, 0                                      // 000000002DC0: 7EF80280
	v_mov_b32_e32 v164, 0                                      // 000000002DC4: 7F480280
	v_mov_b32_e32 v125, 0                                      // 000000002DC8: 7EFA0280
	v_mov_b32_e32 v165, 0                                      // 000000002DCC: 7F4A0280
	v_mov_b32_e32 v126, 0                                      // 000000002DD0: 7EFC0280
	v_mov_b32_e32 v166, 0                                      // 000000002DD4: 7F4C0280
	v_mov_b32_e32 v127, 0                                      // 000000002DD8: 7EFE0280
	v_mov_b32_e32 v167, 0                                      // 000000002DDC: 7F4E0280
	v_mov_b32_e32 v128, 0                                      // 000000002DE0: 7F000280
	v_mov_b32_e32 v168, 0                                      // 000000002DE4: 7F500280
	v_mov_b32_e32 v129, 0                                      // 000000002DE8: 7F020280
	v_mov_b32_e32 v169, 0                                      // 000000002DEC: 7F520280
	v_mov_b32_e32 v130, 0                                      // 000000002DF0: 7F040280
	v_mov_b32_e32 v170, 0                                      // 000000002DF4: 7F540280
	v_mov_b32_e32 v131, 0                                      // 000000002DF8: 7F060280
	v_mov_b32_e32 v171, 0                                      // 000000002DFC: 7F560280
	s_mul_i32 s60, s2, 0x80                                    // 000000002E00: 923CFF02 00000080
	s_cmp_eq_u32 s88, 0                                        // 000000002E08: BF068058
	s_cselect_b32 s61, 1, 2                                    // 000000002E0C: 853D8281
	s_mul_i32 s60, s60, s61                                    // 000000002E10: 923C3D3C
	s_mov_b32 s90, s8                                          // 000000002E14: BEDA0008
	s_mov_b32 s91, s9                                          // 000000002E18: BEDB0009
	s_add_u32 s8, s60, s8                                      // 000000002E1C: 8008083C
	s_addc_u32 s9, 0, s9                                       // 000000002E20: 82090980
	v_lshrrev_b32_e32 v4, 4, v0                                // 000000002E24: 20080084
	v_mul_lo_u32 v20, 34, v4                                   // 000000002E28: D2850014 000208A2
	v_and_b32_e32 v4, 15, v0                                   // 000000002E30: 2608008F
	v_mul_lo_u32 v5, 2, v4                                     // 000000002E34: D2850005 00020882
	v_add_u32_e32 v20, v5, v20                                 // 000000002E3C: 68282905
	s_mul_i32 s60, s7, 0x88                                    // 000000002E40: 923CFF07 00000088
	v_add_u32_e32 v20, s60, v20                                // 000000002E48: 6828283C
	v_lshlrev_b32_e32 v20, 2, v20                              // 000000002E4C: 24282882
	v_and_b32_e32 v4, 31, v0                                   // 000000002E50: 2608009F
	v_lshrrev_b32_e32 v4, 1, v4                                // 000000002E54: 20080881
	v_mul_lo_u32 v21, 34, v4                                   // 000000002E58: D2850015 000208A2
	v_lshrrev_b32_e32 v4, 5, v0                                // 000000002E60: 20080085
	v_mul_lo_u32 v4, 8, v4                                     // 000000002E64: D2850004 00020888
	v_add_u32_e32 v21, v21, v4                                 // 000000002E6C: 682A0915
	v_and_b32_e32 v5, 1, v0                                    // 000000002E70: 260A0081
	v_add_u32_e32 v21, v5, v21                                 // 000000002E74: 682A2B05
	s_mul_i32 s60, s7, 2                                       // 000000002E78: 923C8207
	v_add_u32_e32 v21, s60, v21                                // 000000002E7C: 682A2A3C
	v_lshlrev_b32_e32 v21, 2, v21                              // 000000002E80: 242A2A82
	s_mul_i32 s60, s7, 0x1420                                  // 000000002E84: 923CFF07 00001420
	s_add_u32 s48, 0, s60                                      // 000000002E8C: 80303C80
	s_add_u32 s49, 0x5080, s48                                 // 000000002E90: 803130FF 00005080
	s_add_u32 s50, 0x5080, s49                                 // 000000002E98: 803231FF 00005080
	v_lshrrev_b32_e32 v4, 4, v0                                // 000000002EA0: 20080084
	v_lshlrev_b32_e32 v5, 2, v4                                // 000000002EA4: 240A0882
	v_and_b32_e32 v4, 15, v0                                   // 000000002EA8: 2608008F
	v_lshrrev_b32_e32 v6, 2, v4                                // 000000002EAC: 200C0882
	v_lshlrev_b32_e32 v6, 5, v6                                // 000000002EB0: 240C0C85
	v_add_u32_e32 v5, v6, v5                                   // 000000002EB4: 680A0B06
	v_and_b32_e32 v4, 3, v0                                    // 000000002EB8: 26080083
	v_mul_u32_u24_e32 v6, 0x508, v4                            // 000000002EBC: 100C08FF 00000508
	v_add_u32_e32 v5, v6, v5                                   // 000000002EC4: 680A0B06
	v_lshlrev_b32_e32 v2, 2, v5                                // 000000002EC8: 24040A82
	s_waitcnt lgkmcnt(0)                                       // 000000002ECC: BF8CC07F
	s_mul_i32 s60, s2, 64                                      // 000000002ED0: 923CC002
	s_mul_i32 s60, s60, s69                                    // 000000002ED4: 923C453C
	s_mul_i32 s61, s5, s72                                     // 000000002ED8: 923D4805
	s_add_u32 s60, s61, s60                                    // 000000002EDC: 803C3C3D
	s_add_u32 s24, s60, s24                                    // 000000002EE0: 8018183C
	s_addc_u32 s25, 0, s25                                     // 000000002EE4: 82191980
	s_lshr_b32 s60, s64, s88                                   // 000000002EE8: 8F3C5840
	s_mul_i32 s60, s4, s60                                     // 000000002EEC: 923C3C04
	s_lshr_b32 s60, s60, 7                                     // 000000002EF0: 8F3C873C
	s_mul_i32 s60, s60, 0x800                                  // 000000002EF4: 923CFF3C 00000800
	s_add_u32 s24, s60, s24                                    // 000000002EFC: 8018183C
	s_addc_u32 s25, 0, s25                                     // 000000002F00: 82191980
	s_lshr_b32 s60, s69, s88                                   // 000000002F04: 8F3C5845
	s_mul_i32 s60, s4, s60                                     // 000000002F08: 923C3C04
	s_add_u32 s20, s60, s20                                    // 000000002F0C: 8014143C
	s_addc_u32 s21, 0, s21                                     // 000000002F10: 82151580
	s_mul_i32 s60, s7, 16                                      // 000000002F14: 923C9007
	s_mul_i32 s60, s60, s69                                    // 000000002F18: 923C453C
	v_lshlrev_b32_e32 v90, 4, v0                               // 000000002F1C: 24B40084
	v_add_u32_e32 v90, s60, v90                                // 000000002F20: 68B4B43C
	s_mul_i32 s60, 64, s69                                     // 000000002F24: 923C45C0
	s_mov_b32 s84, s24                                         // 000000002F28: BED40018
	s_mov_b32 s85, s25                                         // 000000002F2C: BED50019
	s_mov_b32 s86, s26                                         // 000000002F30: BED6001A
	s_mov_b32 s87, s27                                         // 000000002F34: BED7001B
	s_mul_i32 s60, s69, s65                                    // 000000002F38: 923C4145
	s_add_u32 s84, s60, s84                                    // 000000002F3C: 8054543C
	s_addc_u32 s85, 0, s85                                     // 000000002F40: 82555580
	v_lshrrev_b32_e32 v4, 4, v0                                // 000000002F44: 20080084
	v_lshlrev_b32_e32 v5, 2, v4                                // 000000002F48: 240A0882
	v_and_b32_e32 v4, 15, v0                                   // 000000002F4C: 2608008F
	v_lshrrev_b32_e32 v6, 2, v4                                // 000000002F50: 200C0882
	v_lshlrev_b32_e32 v6, 6, v6                                // 000000002F54: 240C0C86
	v_add_u32_e32 v5, v6, v5                                   // 000000002F58: 680A0B06
	v_and_b32_e32 v4, 3, v0                                    // 000000002F5C: 26080083
	v_add_u32_e32 v5, v4, v5                                   // 000000002F60: 680A0B04
	v_lshlrev_b32_e32 v22, 2, v5                               // 000000002F64: 242C0A82
	s_mul_i32 s60, s7, 16                                      // 000000002F68: 923C9007
	s_mul_i32 s60, s60, 4                                      // 000000002F6C: 923C843C
	v_add_u32_e32 v22, s60, v22                                // 000000002F70: 682C2C3C
	s_mul_i32 s60, s2, 64                                      // 000000002F74: 923CC002
	s_mul_i32 s60, s60, 4                                      // 000000002F78: 923C843C
	s_mul_i32 s61, s5, s74                                     // 000000002F7C: 923D4A05
	s_add_u32 s61, s61, s60                                    // 000000002F80: 803D3C3D
	s_add_u32 s32, s61, s32                                    // 000000002F84: 8020203D
	s_addc_u32 s33, 0, s33                                     // 000000002F88: 82212180
	s_mov_b32 s57, 0x80                                        // 000000002F8C: BEB900FF 00000080
	s_mov_b32 s58, 0x800                                       // 000000002F94: BEBA00FF 00000800
	s_mov_b32 s83, s58                                         // 000000002F9C: BED3003A
	s_mov_b32 s52, 0x7060302                                   // 000000002FA0: BEB400FF 07060302
	s_mov_b32 s53, 0x400                                       // 000000002FA8: BEB500FF 00000400
	s_mov_b32 s54, 0x40100                                     // 000000002FB0: BEB600FF 00040100
	s_mov_b32 s55, 0x4020100                                   // 000000002FB8: BEB700FF 04020100
	s_mov_b32 s6, 0x3fb8aa3b                                   // 000000002FC0: BE8600FF 3FB8AA3B
	s_mov_b32 s78, 0xbd92220c                                  // 000000002FC8: BECE00FF BD92220C
	s_mov_b32 s79, 0xbd92220c                                  // 000000002FD0: BECF00FF BD92220C
	s_mov_b32 m0, s48                                          // 000000002FD8: BEFC0030
	v_mov_b32_e32 v1, 0xbfcc4231                               // 000000002FDC: 7E0202FF BFCC4231
	v_mov_b32_e32 v17, 0xffff0000                              // 000000002FE4: 7E2202FF FFFF0000
	v_mov_b32_e32 v18, 0x7fff0000                              // 000000002FEC: 7E2402FF 7FFF0000
	v_mov_b32_e32 v19, 0x7fff                                  // 000000002FF4: 7E2602FF 00007FFF
	s_waitcnt vmcnt(0) expcnt(0) lgkmcnt(0)                    // 000000002FFC: BF8C0000
	v_lshrrev_b32_e32 v4, 5, v0                                // 000000003000: 20080085
	v_xor_b32_e32 v5, 1, v4                                    // 000000003004: 2A0A0881
	v_readlane_b32 s82, v3, 0                                  // 000000003008: D2890052 00010103
	s_and_b32 s82, s82, 0xffffff                               // 000000003010: 8652FF52 00FFFFFF
	v_mul_lo_u32 v6, v5, s82                                   // 000000003018: D2850006 0000A505
	v_readlane_b32 s82, v3, 1                                  // 000000003020: D2890052 00010303
	s_and_b32 s82, s82, 0xffffff                               // 000000003028: 8652FF52 00FFFFFF
	v_mul_lo_u32 v7, v4, s82                                   // 000000003030: D2850007 0000A504
	v_add_u32_e32 v70, v6, v7                                  // 000000003038: 688C0F06
	v_mul_lo_u32 v70, v70, s68                                 // 00000000303C: D2850046 00008946
	v_readlane_b32 s82, v3, 2                                  // 000000003044: D2890052 00010503
	s_and_b32 s82, s82, 0xffffff                               // 00000000304C: 8652FF52 00FFFFFF
	v_mul_lo_u32 v6, v5, s82                                   // 000000003054: D2850006 0000A505
	v_readlane_b32 s82, v3, 3                                  // 00000000305C: D2890052 00010703
	s_and_b32 s82, s82, 0xffffff                               // 000000003064: 8652FF52 00FFFFFF
	v_mul_lo_u32 v7, v4, s82                                   // 00000000306C: D2850007 0000A504
	v_add_u32_e32 v71, v6, v7                                  // 000000003074: 688E0F06
	v_mul_lo_u32 v71, v71, s68                                 // 000000003078: D2850047 00008947
	v_readlane_b32 s82, v3, 4                                  // 000000003080: D2890052 00010903
	s_and_b32 s82, s82, 0xffffff                               // 000000003088: 8652FF52 00FFFFFF
	v_mul_lo_u32 v6, v5, s82                                   // 000000003090: D2850006 0000A505
	v_readlane_b32 s82, v3, 5                                  // 000000003098: D2890052 00010B03
	s_and_b32 s82, s82, 0xffffff                               // 0000000030A0: 8652FF52 00FFFFFF
	v_mul_lo_u32 v7, v4, s82                                   // 0000000030A8: D2850007 0000A504
	v_add_u32_e32 v72, v6, v7                                  // 0000000030B0: 68900F06
	v_mul_lo_u32 v72, v72, s68                                 // 0000000030B4: D2850048 00008948
	v_readlane_b32 s82, v3, 6                                  // 0000000030BC: D2890052 00010D03
	s_and_b32 s82, s82, 0xffffff                               // 0000000030C4: 8652FF52 00FFFFFF
	v_mul_lo_u32 v6, v5, s82                                   // 0000000030CC: D2850006 0000A505
	v_readlane_b32 s82, v3, 7                                  // 0000000030D4: D2890052 00010F03
	s_and_b32 s82, s82, 0xffffff                               // 0000000030DC: 8652FF52 00FFFFFF
	v_mul_lo_u32 v7, v4, s82                                   // 0000000030E4: D2850007 0000A504
	v_add_u32_e32 v73, v6, v7                                  // 0000000030EC: 68920F06
	v_mul_lo_u32 v73, v73, s68                                 // 0000000030F0: D2850049 00008949
	v_readlane_b32 s82, v3, 8                                  // 0000000030F8: D2890052 00011103
	s_and_b32 s82, s82, 0xffffff                               // 000000003100: 8652FF52 00FFFFFF
	v_mul_lo_u32 v6, v5, s82                                   // 000000003108: D2850006 0000A505
	v_readlane_b32 s82, v3, 9                                  // 000000003110: D2890052 00011303
	s_and_b32 s82, s82, 0xffffff                               // 000000003118: 8652FF52 00FFFFFF
	v_mul_lo_u32 v7, v4, s82                                   // 000000003120: D2850007 0000A504
	v_add_u32_e32 v74, v6, v7                                  // 000000003128: 68940F06
	v_mul_lo_u32 v74, v74, s68                                 // 00000000312C: D285004A 0000894A
	v_readlane_b32 s82, v3, 10                                 // 000000003134: D2890052 00011503
	s_and_b32 s82, s82, 0xffffff                               // 00000000313C: 8652FF52 00FFFFFF
	v_mul_lo_u32 v6, v5, s82                                   // 000000003144: D2850006 0000A505
	v_readlane_b32 s82, v3, 11                                 // 00000000314C: D2890052 00011703
	s_and_b32 s82, s82, 0xffffff                               // 000000003154: 8652FF52 00FFFFFF
	v_mul_lo_u32 v7, v4, s82                                   // 00000000315C: D2850007 0000A504
	v_add_u32_e32 v75, v6, v7                                  // 000000003164: 68960F06
	v_mul_lo_u32 v75, v75, s68                                 // 000000003168: D285004B 0000894B
	v_readlane_b32 s82, v3, 12                                 // 000000003170: D2890052 00011903
	s_and_b32 s82, s82, 0xffffff                               // 000000003178: 8652FF52 00FFFFFF
	v_mul_lo_u32 v6, v5, s82                                   // 000000003180: D2850006 0000A505
	v_readlane_b32 s82, v3, 13                                 // 000000003188: D2890052 00011B03
	s_and_b32 s82, s82, 0xffffff                               // 000000003190: 8652FF52 00FFFFFF
	v_mul_lo_u32 v7, v4, s82                                   // 000000003198: D2850007 0000A504
	v_add_u32_e32 v76, v6, v7                                  // 0000000031A0: 68980F06
	v_mul_lo_u32 v76, v76, s68                                 // 0000000031A4: D285004C 0000894C
	v_readlane_b32 s82, v3, 14                                 // 0000000031AC: D2890052 00011D03
	s_and_b32 s82, s82, 0xffffff                               // 0000000031B4: 8652FF52 00FFFFFF
	v_mul_lo_u32 v6, v5, s82                                   // 0000000031BC: D2850006 0000A505
	v_readlane_b32 s82, v3, 15                                 // 0000000031C4: D2890052 00011F03
	s_and_b32 s82, s82, 0xffffff                               // 0000000031CC: 8652FF52 00FFFFFF
	v_mul_lo_u32 v7, v4, s82                                   // 0000000031D4: D2850007 0000A504
	v_add_u32_e32 v77, v6, v7                                  // 0000000031DC: 689A0F06
	v_mul_lo_u32 v77, v77, s68                                 // 0000000031E0: D285004D 0000894D
	v_readlane_b32 s82, v3, 16                                 // 0000000031E8: D2890052 00012103
	s_and_b32 s82, s82, 0xffffff                               // 0000000031F0: 8652FF52 00FFFFFF
	v_mul_lo_u32 v6, v5, s82                                   // 0000000031F8: D2850006 0000A505
	v_readlane_b32 s82, v3, 17                                 // 000000003200: D2890052 00012303
	s_and_b32 s82, s82, 0xffffff                               // 000000003208: 8652FF52 00FFFFFF
	v_mul_lo_u32 v7, v4, s82                                   // 000000003210: D2850007 0000A504
	v_add_u32_e32 v78, v6, v7                                  // 000000003218: 689C0F06
	v_mul_lo_u32 v78, v78, s68                                 // 00000000321C: D285004E 0000894E
	v_readlane_b32 s82, v3, 18                                 // 000000003224: D2890052 00012503
	s_and_b32 s82, s82, 0xffffff                               // 00000000322C: 8652FF52 00FFFFFF
	v_mul_lo_u32 v6, v5, s82                                   // 000000003234: D2850006 0000A505
	v_readlane_b32 s82, v3, 19                                 // 00000000323C: D2890052 00012703
	s_and_b32 s82, s82, 0xffffff                               // 000000003244: 8652FF52 00FFFFFF
	v_mul_lo_u32 v7, v4, s82                                   // 00000000324C: D2850007 0000A504
	v_add_u32_e32 v79, v6, v7                                  // 000000003254: 689E0F06
	v_mul_lo_u32 v79, v79, s68                                 // 000000003258: D285004F 0000894F
	v_readlane_b32 s82, v3, 20                                 // 000000003260: D2890052 00012903
	s_and_b32 s82, s82, 0xffffff                               // 000000003268: 8652FF52 00FFFFFF
	v_mul_lo_u32 v6, v5, s82                                   // 000000003270: D2850006 0000A505
	v_readlane_b32 s82, v3, 21                                 // 000000003278: D2890052 00012B03
	s_and_b32 s82, s82, 0xffffff                               // 000000003280: 8652FF52 00FFFFFF
	v_mul_lo_u32 v7, v4, s82                                   // 000000003288: D2850007 0000A504
	v_add_u32_e32 v80, v6, v7                                  // 000000003290: 68A00F06
	v_mul_lo_u32 v80, v80, s68                                 // 000000003294: D2850050 00008950
	v_readlane_b32 s82, v3, 22                                 // 00000000329C: D2890052 00012D03
	s_and_b32 s82, s82, 0xffffff                               // 0000000032A4: 8652FF52 00FFFFFF
	v_mul_lo_u32 v6, v5, s82                                   // 0000000032AC: D2850006 0000A505
	v_readlane_b32 s82, v3, 23                                 // 0000000032B4: D2890052 00012F03
	s_and_b32 s82, s82, 0xffffff                               // 0000000032BC: 8652FF52 00FFFFFF
	v_mul_lo_u32 v7, v4, s82                                   // 0000000032C4: D2850007 0000A504
	v_add_u32_e32 v81, v6, v7                                  // 0000000032CC: 68A20F06
	v_mul_lo_u32 v81, v81, s68                                 // 0000000032D0: D2850051 00008951
	v_readlane_b32 s82, v3, 24                                 // 0000000032D8: D2890052 00013103
	s_and_b32 s82, s82, 0xffffff                               // 0000000032E0: 8652FF52 00FFFFFF
	v_mul_lo_u32 v6, v5, s82                                   // 0000000032E8: D2850006 0000A505
	v_readlane_b32 s82, v3, 25                                 // 0000000032F0: D2890052 00013303
	s_and_b32 s82, s82, 0xffffff                               // 0000000032F8: 8652FF52 00FFFFFF
	v_mul_lo_u32 v7, v4, s82                                   // 000000003300: D2850007 0000A504
	v_add_u32_e32 v82, v6, v7                                  // 000000003308: 68A40F06
	v_mul_lo_u32 v82, v82, s68                                 // 00000000330C: D2850052 00008952
	v_readlane_b32 s82, v3, 26                                 // 000000003314: D2890052 00013503
	s_and_b32 s82, s82, 0xffffff                               // 00000000331C: 8652FF52 00FFFFFF
	v_mul_lo_u32 v6, v5, s82                                   // 000000003324: D2850006 0000A505
	v_readlane_b32 s82, v3, 27                                 // 00000000332C: D2890052 00013703
	s_and_b32 s82, s82, 0xffffff                               // 000000003334: 8652FF52 00FFFFFF
	v_mul_lo_u32 v7, v4, s82                                   // 00000000333C: D2850007 0000A504
	v_add_u32_e32 v83, v6, v7                                  // 000000003344: 68A60F06
	v_mul_lo_u32 v83, v83, s68                                 // 000000003348: D2850053 00008953
	v_readlane_b32 s82, v3, 28                                 // 000000003350: D2890052 00013903
	s_and_b32 s82, s82, 0xffffff                               // 000000003358: 8652FF52 00FFFFFF
	v_mul_lo_u32 v6, v5, s82                                   // 000000003360: D2850006 0000A505
	v_readlane_b32 s82, v3, 29                                 // 000000003368: D2890052 00013B03
	s_and_b32 s82, s82, 0xffffff                               // 000000003370: 8652FF52 00FFFFFF
	v_mul_lo_u32 v7, v4, s82                                   // 000000003378: D2850007 0000A504
	v_add_u32_e32 v84, v6, v7                                  // 000000003380: 68A80F06
	v_mul_lo_u32 v84, v84, s68                                 // 000000003384: D2850054 00008954
	v_readlane_b32 s82, v3, 30                                 // 00000000338C: D2890052 00013D03
	s_and_b32 s82, s82, 0xffffff                               // 000000003394: 8652FF52 00FFFFFF
	v_mul_lo_u32 v6, v5, s82                                   // 00000000339C: D2850006 0000A505
	v_readlane_b32 s82, v3, 31                                 // 0000000033A4: D2890052 00013F03
	s_and_b32 s82, s82, 0xffffff                               // 0000000033AC: 8652FF52 00FFFFFF
	v_mul_lo_u32 v7, v4, s82                                   // 0000000033B4: D2850007 0000A504
	v_add_u32_e32 v85, v6, v7                                  // 0000000033BC: 68AA0F06
	v_mul_lo_u32 v85, v85, s68                                 // 0000000033C0: D2850055 00008955
	v_readlane_b32 s82, v3, 32                                 // 0000000033C8: D2890052 00014103
	s_and_b32 s82, s82, 0xffffff                               // 0000000033D0: 8652FF52 00FFFFFF
	v_mul_lo_u32 v6, v5, s82                                   // 0000000033D8: D2850006 0000A505
	v_readlane_b32 s82, v3, 33                                 // 0000000033E0: D2890052 00014303
	s_and_b32 s82, s82, 0xffffff                               // 0000000033E8: 8652FF52 00FFFFFF
	v_mul_lo_u32 v7, v4, s82                                   // 0000000033F0: D2850007 0000A504
	v_add_u32_e32 v86, v6, v7                                  // 0000000033F8: 68AC0F06
	v_mul_lo_u32 v86, v86, s68                                 // 0000000033FC: D2850056 00008956
	v_readlane_b32 s82, v3, 34                                 // 000000003404: D2890052 00014503
	s_and_b32 s82, s82, 0xffffff                               // 00000000340C: 8652FF52 00FFFFFF
	v_mul_lo_u32 v6, v5, s82                                   // 000000003414: D2850006 0000A505
	v_readlane_b32 s82, v3, 35                                 // 00000000341C: D2890052 00014703
	s_and_b32 s82, s82, 0xffffff                               // 000000003424: 8652FF52 00FFFFFF
	v_mul_lo_u32 v7, v4, s82                                   // 00000000342C: D2850007 0000A504
	v_add_u32_e32 v87, v6, v7                                  // 000000003434: 68AE0F06
	v_mul_lo_u32 v87, v87, s68                                 // 000000003438: D2850057 00008957
	v_readlane_b32 s82, v3, 36                                 // 000000003440: D2890052 00014903
	s_and_b32 s82, s82, 0xffffff                               // 000000003448: 8652FF52 00FFFFFF
	v_mul_lo_u32 v6, v5, s82                                   // 000000003450: D2850006 0000A505
	v_readlane_b32 s82, v3, 37                                 // 000000003458: D2890052 00014B03
	s_and_b32 s82, s82, 0xffffff                               // 000000003460: 8652FF52 00FFFFFF
	v_mul_lo_u32 v7, v4, s82                                   // 000000003468: D2850007 0000A504
	v_add_u32_e32 v88, v6, v7                                  // 000000003470: 68B00F06
	v_mul_lo_u32 v88, v88, s68                                 // 000000003474: D2850058 00008958
	v_readlane_b32 s82, v3, 38                                 // 00000000347C: D2890052 00014D03
	s_and_b32 s82, s82, 0xffffff                               // 000000003484: 8652FF52 00FFFFFF
	v_mul_lo_u32 v6, v5, s82                                   // 00000000348C: D2850006 0000A505
	v_readlane_b32 s82, v3, 39                                 // 000000003494: D2890052 00014F03
	s_and_b32 s82, s82, 0xffffff                               // 00000000349C: 8652FF52 00FFFFFF
	v_mul_lo_u32 v7, v4, s82                                   // 0000000034A4: D2850007 0000A504
	v_add_u32_e32 v89, v6, v7                                  // 0000000034AC: 68B20F06
	v_mul_lo_u32 v89, v89, s68                                 // 0000000034B0: D2850059 00008959
	v_and_b32_e32 v4, 31, v0                                   // 0000000034B8: 2608009F
	v_lshlrev_b32_e32 v4, 2, v4                                // 0000000034BC: 24080882
	v_add_u32_e32 v70, v70, v4                                 // 0000000034C0: 688C0946
	v_add_u32_e32 v71, v71, v4                                 // 0000000034C4: 688E0947
	v_add_u32_e32 v72, v72, v4                                 // 0000000034C8: 68900948
	v_add_u32_e32 v73, v73, v4                                 // 0000000034CC: 68920949
	v_add_u32_e32 v74, v74, v4                                 // 0000000034D0: 6894094A
	v_add_u32_e32 v75, v75, v4                                 // 0000000034D4: 6896094B
	v_add_u32_e32 v76, v76, v4                                 // 0000000034D8: 6898094C
	v_add_u32_e32 v77, v77, v4                                 // 0000000034DC: 689A094D
	v_add_u32_e32 v78, v78, v4                                 // 0000000034E0: 689C094E
	v_add_u32_e32 v79, v79, v4                                 // 0000000034E4: 689E094F
	v_add_u32_e32 v80, v80, v4                                 // 0000000034E8: 68A00950
	v_add_u32_e32 v81, v81, v4                                 // 0000000034EC: 68A20951
	v_add_u32_e32 v82, v82, v4                                 // 0000000034F0: 68A40952
	v_add_u32_e32 v83, v83, v4                                 // 0000000034F4: 68A60953
	v_add_u32_e32 v84, v84, v4                                 // 0000000034F8: 68A80954
	v_add_u32_e32 v85, v85, v4                                 // 0000000034FC: 68AA0955
	v_add_u32_e32 v86, v86, v4                                 // 000000003500: 68AC0956
	v_add_u32_e32 v87, v87, v4                                 // 000000003504: 68AE0957
	v_add_u32_e32 v88, v88, v4                                 // 000000003508: 68B00958
	v_add_u32_e32 v89, v89, v4                                 // 00000000350C: 68B20959
	v_and_b32_e32 v30, 0xffffff, v30                           // 000000003510: 263C3CFF 00FFFFFF
	v_lshlrev_b32_e32 v30, 2, v30                              // 000000003518: 243C3C82
	v_and_b32_e32 v31, 0xffffff, v31                           // 00000000351C: 263E3EFF 00FFFFFF
	v_lshlrev_b32_e32 v31, 2, v31                              // 000000003524: 243E3E82
	v_and_b32_e32 v32, 0xffffff, v32                           // 000000003528: 264040FF 00FFFFFF
	v_lshlrev_b32_e32 v32, 2, v32                              // 000000003530: 24404082
	v_and_b32_e32 v33, 0xffffff, v33                           // 000000003534: 264242FF 00FFFFFF
	v_lshlrev_b32_e32 v33, 2, v33                              // 00000000353C: 24424282
	v_and_b32_e32 v34, 0xffffff, v34                           // 000000003540: 264444FF 00FFFFFF
	v_lshlrev_b32_e32 v34, 2, v34                              // 000000003548: 24444482
	v_and_b32_e32 v35, 0xffffff, v35                           // 00000000354C: 264646FF 00FFFFFF
	v_lshlrev_b32_e32 v35, 2, v35                              // 000000003554: 24464682
	v_and_b32_e32 v36, 0xffffff, v36                           // 000000003558: 264848FF 00FFFFFF
	v_lshlrev_b32_e32 v36, 2, v36                              // 000000003560: 24484882
	v_and_b32_e32 v37, 0xffffff, v37                           // 000000003564: 264A4AFF 00FFFFFF
	v_lshlrev_b32_e32 v37, 2, v37                              // 00000000356C: 244A4A82
	v_and_b32_e32 v38, 0xffffff, v38                           // 000000003570: 264C4CFF 00FFFFFF
	v_lshlrev_b32_e32 v38, 2, v38                              // 000000003578: 244C4C82
	v_and_b32_e32 v39, 0xffffff, v39                           // 00000000357C: 264E4EFF 00FFFFFF
	v_lshlrev_b32_e32 v39, 2, v39                              // 000000003584: 244E4E82
	s_lshl_b32 s3, s66, 2                                      // 000000003588: 8E038242
	buffer_load_dword v40, v30, s[28:31], 0 offen              // 00000000358C: E0501000 8007281E
	buffer_load_dword v41, v31, s[28:31], 0 offen              // 000000003594: E0501000 8007291F
	buffer_load_dword v42, v32, s[28:31], 0 offen              // 00000000359C: E0501000 80072A20
	buffer_load_dword v43, v33, s[28:31], 0 offen              // 0000000035A4: E0501000 80072B21
	buffer_load_dword v44, v34, s[28:31], 0 offen              // 0000000035AC: E0501000 80072C22
	buffer_load_dword v45, v35, s[28:31], 0 offen              // 0000000035B4: E0501000 80072D23
	buffer_load_dword v46, v36, s[28:31], 0 offen              // 0000000035BC: E0501000 80072E24
	buffer_load_dword v47, v37, s[28:31], 0 offen              // 0000000035C4: E0501000 80072F25
	buffer_load_dword v48, v38, s[28:31], 0 offen              // 0000000035CC: E0501000 80073026
	buffer_load_dword v49, v39, s[28:31], 0 offen              // 0000000035D4: E0501000 80073127
	buffer_load_dword v24, v22, s[32:35], 0 offen              // 0000000035DC: E0501000 80081816
	s_mul_i32 s60, 4, s65                                      // 0000000035E4: 923C4184
	s_add_u32 s32, s60, s32                                    // 0000000035E8: 8020203C
	s_addc_u32 s33, 0, s33                                     // 0000000035EC: 82212180
	buffer_load_dword v27, v22, s[32:35], 0 offen              // 0000000035F0: E0501000 80081B16
	buffer_load_dword v70, s[20:23], 0 offen lds               // 0000000035F8: E0511000 80050046
	s_add_u32 m0, 0x100, s48                                   // 000000003600: 807C30FF 00000100
	buffer_load_dword v71, s[20:23], 0 offen lds               // 000000003608: E0511000 80050047
	s_add_u32 m0, 0x200, s48                                   // 000000003610: 807C30FF 00000200
	buffer_load_dword v72, s[20:23], 0 offen lds               // 000000003618: E0511000 80050048
	s_add_u32 m0, 0x300, s48                                   // 000000003620: 807C30FF 00000300
	buffer_load_dword v73, s[20:23], 0 offen lds               // 000000003628: E0511000 80050049
	s_add_u32 m0, 0x400, s48                                   // 000000003630: 807C30FF 00000400
	buffer_load_dword v74, s[20:23], 0 offen lds               // 000000003638: E0511000 8005004A
	s_add_u32 m0, 0x500, s48                                   // 000000003640: 807C30FF 00000500
	buffer_load_dword v75, s[20:23], 0 offen lds               // 000000003648: E0511000 8005004B
	s_add_u32 m0, 0x600, s48                                   // 000000003650: 807C30FF 00000600
	buffer_load_dword v76, s[20:23], 0 offen lds               // 000000003658: E0511000 8005004C
	s_add_u32 m0, 0x700, s48                                   // 000000003660: 807C30FF 00000700
	buffer_load_dword v77, s[20:23], 0 offen lds               // 000000003668: E0511000 8005004D
	s_add_u32 m0, 0x800, s48                                   // 000000003670: 807C30FF 00000800
	buffer_load_dword v78, s[20:23], 0 offen lds               // 000000003678: E0511000 8005004E
	s_add_u32 m0, 0x900, s48                                   // 000000003680: 807C30FF 00000900
	buffer_load_dword v79, s[20:23], 0 offen lds               // 000000003688: E0511000 8005004F
	s_add_u32 m0, 0xa00, s48                                   // 000000003690: 807C30FF 00000A00
	buffer_load_dword v80, s[20:23], 0 offen lds               // 000000003698: E0511000 80050050
	s_add_u32 m0, 0xb00, s48                                   // 0000000036A0: 807C30FF 00000B00
	buffer_load_dword v81, s[20:23], 0 offen lds               // 0000000036A8: E0511000 80050051
	s_add_u32 m0, 0xc00, s48                                   // 0000000036B0: 807C30FF 00000C00
	buffer_load_dword v82, s[20:23], 0 offen lds               // 0000000036B8: E0511000 80050052
	s_add_u32 m0, 0xd00, s48                                   // 0000000036C0: 807C30FF 00000D00
	buffer_load_dword v83, s[20:23], 0 offen lds               // 0000000036C8: E0511000 80050053
	s_add_u32 m0, 0xe00, s48                                   // 0000000036D0: 807C30FF 00000E00
	buffer_load_dword v84, s[20:23], 0 offen lds               // 0000000036D8: E0511000 80050054
	s_add_u32 m0, 0xf00, s48                                   // 0000000036E0: 807C30FF 00000F00
	buffer_load_dword v85, s[20:23], 0 offen lds               // 0000000036E8: E0511000 80050055
	s_add_u32 m0, 0x1000, s48                                  // 0000000036F0: 807C30FF 00001000
	buffer_load_dword v86, s[20:23], 0 offen lds               // 0000000036F8: E0511000 80050056
	s_add_u32 m0, 0x1100, s48                                  // 000000003700: 807C30FF 00001100
	buffer_load_dword v87, s[20:23], 0 offen lds               // 000000003708: E0511000 80050057
	s_add_u32 m0, 0x1200, s48                                  // 000000003710: 807C30FF 00001200
	buffer_load_dword v88, s[20:23], 0 offen lds               // 000000003718: E0511000 80050058
	;; [unrolled: 2-line block ×3, first 2 shown]
	s_add_u32 m0, 0, s49                                       // 000000003730: 807C3180
	s_add_u32 s20, s57, s20                                    // 000000003734: 80141439
	s_addc_u32 s21, 0, s21                                     // 000000003738: 82151580
	buffer_load_dwordx4 a[160:163], v90, s[24:27], 0 offen     // 00000000373C: E05C1000 8086A05A
	buffer_load_dwordx4 a[164:167], v90, s[24:27], 0 offen offset:1024// 000000003744: E05C1400 8086A45A
	s_add_u32 s24, s58, s24                                    // 00000000374C: 8018183A
	s_addc_u32 s25, 0, s25                                     // 000000003750: 82191980
	buffer_load_dword v70, s[20:23], 0 offen lds               // 000000003754: E0511000 80050046
	s_add_u32 m0, 0x100, s49                                   // 00000000375C: 807C31FF 00000100
	buffer_load_dword v71, s[20:23], 0 offen lds               // 000000003764: E0511000 80050047
	s_add_u32 m0, 0x200, s49                                   // 00000000376C: 807C31FF 00000200
	buffer_load_dword v72, s[20:23], 0 offen lds               // 000000003774: E0511000 80050048
	s_add_u32 m0, 0x300, s49                                   // 00000000377C: 807C31FF 00000300
	buffer_load_dword v73, s[20:23], 0 offen lds               // 000000003784: E0511000 80050049
	s_add_u32 m0, 0x400, s49                                   // 00000000378C: 807C31FF 00000400
	buffer_load_dword v74, s[20:23], 0 offen lds               // 000000003794: E0511000 8005004A
	s_add_u32 m0, 0x500, s49                                   // 00000000379C: 807C31FF 00000500
	buffer_load_dword v75, s[20:23], 0 offen lds               // 0000000037A4: E0511000 8005004B
	s_add_u32 m0, 0x600, s49                                   // 0000000037AC: 807C31FF 00000600
	buffer_load_dword v76, s[20:23], 0 offen lds               // 0000000037B4: E0511000 8005004C
	s_add_u32 m0, 0x700, s49                                   // 0000000037BC: 807C31FF 00000700
	buffer_load_dword v77, s[20:23], 0 offen lds               // 0000000037C4: E0511000 8005004D
	s_add_u32 m0, 0x800, s49                                   // 0000000037CC: 807C31FF 00000800
	buffer_load_dword v78, s[20:23], 0 offen lds               // 0000000037D4: E0511000 8005004E
	s_add_u32 m0, 0x900, s49                                   // 0000000037DC: 807C31FF 00000900
	buffer_load_dword v79, s[20:23], 0 offen lds               // 0000000037E4: E0511000 8005004F
	s_add_u32 m0, 0xa00, s49                                   // 0000000037EC: 807C31FF 00000A00
	buffer_load_dword v80, s[20:23], 0 offen lds               // 0000000037F4: E0511000 80050050
	s_add_u32 m0, 0xb00, s49                                   // 0000000037FC: 807C31FF 00000B00
	buffer_load_dword v81, s[20:23], 0 offen lds               // 000000003804: E0511000 80050051
	s_add_u32 m0, 0xc00, s49                                   // 00000000380C: 807C31FF 00000C00
	buffer_load_dword v82, s[20:23], 0 offen lds               // 000000003814: E0511000 80050052
	s_add_u32 m0, 0xd00, s49                                   // 00000000381C: 807C31FF 00000D00
	buffer_load_dword v83, s[20:23], 0 offen lds               // 000000003824: E0511000 80050053
	s_add_u32 m0, 0xe00, s49                                   // 00000000382C: 807C31FF 00000E00
	buffer_load_dword v84, s[20:23], 0 offen lds               // 000000003834: E0511000 80050054
	s_add_u32 m0, 0xf00, s49                                   // 00000000383C: 807C31FF 00000F00
	buffer_load_dword v85, s[20:23], 0 offen lds               // 000000003844: E0511000 80050055
	s_add_u32 m0, 0x1000, s49                                  // 00000000384C: 807C31FF 00001000
	buffer_load_dword v86, s[20:23], 0 offen lds               // 000000003854: E0511000 80050056
	s_add_u32 m0, 0x1100, s49                                  // 00000000385C: 807C31FF 00001100
	buffer_load_dword v87, s[20:23], 0 offen lds               // 000000003864: E0511000 80050057
	s_add_u32 m0, 0x1200, s49                                  // 00000000386C: 807C31FF 00001200
	buffer_load_dword v88, s[20:23], 0 offen lds               // 000000003874: E0511000 80050058
	s_add_u32 m0, 0x1300, s49                                  // 00000000387C: 807C31FF 00001300
	buffer_load_dword v89, s[20:23], 0 offen lds               // 000000003884: E0511000 80050059
	s_add_u32 m0, 0, s50                                       // 00000000388C: 807C3280
	s_add_u32 s20, s57, s20                                    // 000000003890: 80141439
	s_addc_u32 s21, 0, s21                                     // 000000003894: 82151580
	buffer_load_dwordx4 a[168:171], v90, s[84:87], 0 offen     // 000000003898: E05C1000 8095A85A
	buffer_load_dwordx4 a[172:175], v90, s[84:87], 0 offen offset:1024// 0000000038A0: E05C1400 8095AC5A
	s_add_u32 s84, s83, s84                                    // 0000000038A8: 80545453
	s_addc_u32 s85, 0, s85                                     // 0000000038AC: 82555580
	s_waitcnt vmcnt(24)                                        // 0000000038B0: BF8C4F78
	s_barrier                                                  // 0000000038B4: BF8A0000
	ds_read_b128 a[0:3], v2                                    // 0000000038B8: DBFE0000 00000002
	ds_read_b128 a[4:7], v2 offset:64                          // 0000000038C0: DBFE0040 04000002
	ds_read_b128 a[8:11], v2 offset:512                        // 0000000038C8: DBFE0200 08000002
	ds_read_b128 a[12:15], v2 offset:576                       // 0000000038D0: DBFE0240 0C000002
	ds_read_b128 a[16:19], v2 offset:1024                      // 0000000038D8: DBFE0400 10000002
	ds_read_b128 a[20:23], v2 offset:1088                      // 0000000038E0: DBFE0440 14000002
	ds_read_b128 a[24:27], v2 offset:1536                      // 0000000038E8: DBFE0600 18000002
	ds_read_b128 a[28:31], v2 offset:1600                      // 0000000038F0: DBFE0640 1C000002
	ds_read_b128 a[32:35], v2 offset:2048                      // 0000000038F8: DBFE0800 20000002
	ds_read_b128 a[36:39], v2 offset:2112                      // 000000003900: DBFE0840 24000002
	ds_read_b128 a[40:43], v2 offset:2560                      // 000000003908: DBFE0A00 28000002
	ds_read_b128 a[44:47], v2 offset:2624                      // 000000003910: DBFE0A40 2C000002
	ds_read_b128 a[48:51], v2 offset:3072                      // 000000003918: DBFE0C00 30000002
	ds_read_b128 a[52:55], v2 offset:3136                      // 000000003920: DBFE0C40 34000002
	ds_read_b128 a[56:59], v2 offset:3584                      // 000000003928: DBFE0E00 38000002
	ds_read_b128 a[60:63], v2 offset:3648                      // 000000003930: DBFE0E40 3C000002
	ds_read_b128 a[64:67], v2 offset:4096                      // 000000003938: DBFE1000 40000002
	ds_read_b128 a[68:71], v2 offset:4160                      // 000000003940: DBFE1040 44000002
	ds_read_b128 a[72:75], v2 offset:4608                      // 000000003948: DBFE1200 48000002
	ds_read_b128 a[76:79], v2 offset:4672                      // 000000003950: DBFE1240 4C000002
	s_cmp_lt_i32 s7, 2                                         // 000000003958: BF048207
	s_cbranch_scc0 label_1C03                                  // 00000000395C: BF841828

0000000000003960 <label_03D8>:
	s_waitcnt vmcnt(22) lgkmcnt(0)                             // 000000003960: BF8C4076
	v_mfma_f32_16x16x32_fp8_fp8 v[92:95], a[160:161], a[0:1], v[92:95]// 000000003964: D3F3005C 1D7201A0
	v_mfma_f32_16x16x32_fp8_fp8 v[92:95], a[162:163], a[2:3], v[92:95]// 00000000396C: D3F3005C 1D7205A2
	buffer_load_dwordx4 a[176:179], v90, s[24:27], 0 offen     // 000000003974: E05C1000 8086B05A
	v_mfma_f32_16x16x32_fp8_fp8 v[92:95], a[164:165], a[4:5], v[92:95]// 00000000397C: D3F3005C 1D7209A4
	v_mfma_f32_16x16x32_fp8_fp8 v[92:95], a[166:167], a[6:7], v[92:95]// 000000003984: D3F3005C 1D720DA6
	v_mfma_f32_16x16x32_fp8_fp8 v[96:99], a[160:161], a[8:9], v[96:99]// 00000000398C: D3F30060 1D8211A0
	v_mfma_f32_16x16x32_fp8_fp8 v[96:99], a[162:163], a[10:11], v[96:99]// 000000003994: D3F30060 1D8215A2
	buffer_load_dwordx4 a[180:183], v90, s[24:27], 0 offen offset:1024// 00000000399C: E05C1400 8086B45A
	buffer_load_dword v70, s[20:23], 0 offen lds               // 0000000039A4: E0511000 80050046
	s_add_u32 m0, 0x100, s50                                   // 0000000039AC: 807C32FF 00000100
	v_mfma_f32_16x16x32_fp8_fp8 v[96:99], a[164:165], a[12:13], v[96:99]// 0000000039B4: D3F30060 1D8219A4
	v_mfma_f32_16x16x32_fp8_fp8 v[96:99], a[166:167], a[14:15], v[96:99]// 0000000039BC: D3F30060 1D821DA6
	buffer_load_dword v71, s[20:23], 0 offen lds               // 0000000039C4: E0511000 80050047
	s_add_u32 m0, 0x200, s50                                   // 0000000039CC: 807C32FF 00000200
	v_mfma_f32_16x16x32_fp8_fp8 v[100:103], a[160:161], a[16:17], v[100:103]// 0000000039D4: D3F30064 1D9221A0
	v_mfma_f32_16x16x32_fp8_fp8 v[100:103], a[162:163], a[18:19], v[100:103]// 0000000039DC: D3F30064 1D9225A2
	buffer_load_dword v72, s[20:23], 0 offen lds               // 0000000039E4: E0511000 80050048
	s_add_u32 m0, 0x300, s50                                   // 0000000039EC: 807C32FF 00000300
	v_mfma_f32_16x16x32_fp8_fp8 v[100:103], a[164:165], a[20:21], v[100:103]// 0000000039F4: D3F30064 1D9229A4
	v_mfma_f32_16x16x32_fp8_fp8 v[100:103], a[166:167], a[22:23], v[100:103]// 0000000039FC: D3F30064 1D922DA6
	buffer_load_dword v73, s[20:23], 0 offen lds               // 000000003A04: E0511000 80050049
	s_add_u32 m0, 0x400, s50                                   // 000000003A0C: 807C32FF 00000400
	v_mfma_f32_16x16x32_fp8_fp8 v[104:107], a[160:161], a[24:25], v[104:107]// 000000003A14: D3F30068 1DA231A0
	v_mfma_f32_16x16x32_fp8_fp8 v[104:107], a[162:163], a[26:27], v[104:107]// 000000003A1C: D3F30068 1DA235A2
	buffer_load_dword v74, s[20:23], 0 offen lds               // 000000003A24: E0511000 8005004A
	s_add_u32 m0, 0x500, s50                                   // 000000003A2C: 807C32FF 00000500
	v_mfma_f32_16x16x32_fp8_fp8 v[104:107], a[164:165], a[28:29], v[104:107]// 000000003A34: D3F30068 1DA239A4
	v_mfma_f32_16x16x32_fp8_fp8 v[104:107], a[166:167], a[30:31], v[104:107]// 000000003A3C: D3F30068 1DA23DA6
	buffer_load_dword v75, s[20:23], 0 offen lds               // 000000003A44: E0511000 8005004B
	s_add_u32 m0, 0x600, s50                                   // 000000003A4C: 807C32FF 00000600
	v_mfma_f32_16x16x32_fp8_fp8 v[108:111], a[160:161], a[32:33], v[108:111]// 000000003A54: D3F3006C 1DB241A0
	v_mfma_f32_16x16x32_fp8_fp8 v[108:111], a[162:163], a[34:35], v[108:111]// 000000003A5C: D3F3006C 1DB245A2
	buffer_load_dword v76, s[20:23], 0 offen lds               // 000000003A64: E0511000 8005004C
	s_add_u32 m0, 0x700, s50                                   // 000000003A6C: 807C32FF 00000700
	v_mfma_f32_16x16x32_fp8_fp8 v[108:111], a[164:165], a[36:37], v[108:111]// 000000003A74: D3F3006C 1DB249A4
	v_mfma_f32_16x16x32_fp8_fp8 v[108:111], a[166:167], a[38:39], v[108:111]// 000000003A7C: D3F3006C 1DB24DA6
	buffer_load_dword v77, s[20:23], 0 offen lds               // 000000003A84: E0511000 8005004D
	s_add_u32 m0, 0x800, s50                                   // 000000003A8C: 807C32FF 00000800
	v_mfma_f32_16x16x32_fp8_fp8 v[112:115], a[160:161], a[40:41], v[112:115]// 000000003A94: D3F30070 1DC251A0
	v_mfma_f32_16x16x32_fp8_fp8 v[112:115], a[162:163], a[42:43], v[112:115]// 000000003A9C: D3F30070 1DC255A2
	buffer_load_dword v78, s[20:23], 0 offen lds               // 000000003AA4: E0511000 8005004E
	s_add_u32 m0, 0x900, s50                                   // 000000003AAC: 807C32FF 00000900
	v_mfma_f32_16x16x32_fp8_fp8 v[112:115], a[164:165], a[44:45], v[112:115]// 000000003AB4: D3F30070 1DC259A4
	v_mfma_f32_16x16x32_fp8_fp8 v[112:115], a[166:167], a[46:47], v[112:115]// 000000003ABC: D3F30070 1DC25DA6
	buffer_load_dword v79, s[20:23], 0 offen lds               // 000000003AC4: E0511000 8005004F
	s_add_u32 m0, 0xa00, s50                                   // 000000003ACC: 807C32FF 00000A00
	v_mfma_f32_16x16x32_fp8_fp8 v[116:119], a[160:161], a[48:49], v[116:119]// 000000003AD4: D3F30074 1DD261A0
	v_mfma_f32_16x16x32_fp8_fp8 v[116:119], a[162:163], a[50:51], v[116:119]// 000000003ADC: D3F30074 1DD265A2
	buffer_load_dword v80, s[20:23], 0 offen lds               // 000000003AE4: E0511000 80050050
	s_add_u32 m0, 0xb00, s50                                   // 000000003AEC: 807C32FF 00000B00
	v_mfma_f32_16x16x32_fp8_fp8 v[116:119], a[164:165], a[52:53], v[116:119]// 000000003AF4: D3F30074 1DD269A4
	v_mfma_f32_16x16x32_fp8_fp8 v[116:119], a[166:167], a[54:55], v[116:119]// 000000003AFC: D3F30074 1DD26DA6
	buffer_load_dword v81, s[20:23], 0 offen lds               // 000000003B04: E0511000 80050051
	s_add_u32 m0, 0xc00, s50                                   // 000000003B0C: 807C32FF 00000C00
	v_mfma_f32_16x16x32_fp8_fp8 v[120:123], a[160:161], a[56:57], v[120:123]// 000000003B14: D3F30078 1DE271A0
	v_mfma_f32_16x16x32_fp8_fp8 v[120:123], a[162:163], a[58:59], v[120:123]// 000000003B1C: D3F30078 1DE275A2
	buffer_load_dword v82, s[20:23], 0 offen lds               // 000000003B24: E0511000 80050052
	s_add_u32 m0, 0xd00, s50                                   // 000000003B2C: 807C32FF 00000D00
	v_mfma_f32_16x16x32_fp8_fp8 v[120:123], a[164:165], a[60:61], v[120:123]// 000000003B34: D3F30078 1DE279A4
	v_mfma_f32_16x16x32_fp8_fp8 v[120:123], a[166:167], a[62:63], v[120:123]// 000000003B3C: D3F30078 1DE27DA6
	buffer_load_dword v83, s[20:23], 0 offen lds               // 000000003B44: E0511000 80050053
	s_add_u32 m0, 0xe00, s50                                   // 000000003B4C: 807C32FF 00000E00
	v_mfma_f32_16x16x32_fp8_fp8 v[124:127], a[160:161], a[64:65], v[124:127]// 000000003B54: D3F3007C 1DF281A0
	v_mfma_f32_16x16x32_fp8_fp8 v[124:127], a[162:163], a[66:67], v[124:127]// 000000003B5C: D3F3007C 1DF285A2
	buffer_load_dword v84, s[20:23], 0 offen lds               // 000000003B64: E0511000 80050054
	s_add_u32 m0, 0xf00, s50                                   // 000000003B6C: 807C32FF 00000F00
	v_mfma_f32_16x16x32_fp8_fp8 v[124:127], a[164:165], a[68:69], v[124:127]// 000000003B74: D3F3007C 1DF289A4
	v_mfma_f32_16x16x32_fp8_fp8 v[124:127], a[166:167], a[70:71], v[124:127]// 000000003B7C: D3F3007C 1DF28DA6
	buffer_load_dword v85, s[20:23], 0 offen lds               // 000000003B84: E0511000 80050055
	s_add_u32 m0, 0x1000, s50                                  // 000000003B8C: 807C32FF 00001000
	v_mfma_f32_16x16x32_fp8_fp8 v[128:131], a[160:161], a[72:73], v[128:131]// 000000003B94: D3F30080 1E0291A0
	v_mfma_f32_16x16x32_fp8_fp8 v[128:131], a[162:163], a[74:75], v[128:131]// 000000003B9C: D3F30080 1E0295A2
	buffer_load_dword v86, s[20:23], 0 offen lds               // 000000003BA4: E0511000 80050056
	s_add_u32 m0, 0x1100, s50                                  // 000000003BAC: 807C32FF 00001100
	v_mfma_f32_16x16x32_fp8_fp8 v[128:131], a[164:165], a[76:77], v[128:131]// 000000003BB4: D3F30080 1E0299A4
	v_mfma_f32_16x16x32_fp8_fp8 v[128:131], a[166:167], a[78:79], v[128:131]// 000000003BBC: D3F30080 1E029DA6
	buffer_load_dword v87, s[20:23], 0 offen lds               // 000000003BC4: E0511000 80050057
	s_add_u32 m0, 0x1200, s50                                  // 000000003BCC: 807C32FF 00001200
	buffer_load_dword v88, s[20:23], 0 offen lds               // 000000003BD4: E0511000 80050058
	s_add_u32 m0, 0x1300, s50                                  // 000000003BDC: 807C32FF 00001300
	buffer_load_dword v89, s[20:23], 0 offen lds               // 000000003BE4: E0511000 80050059
	s_add_u32 m0, 0, s48                                       // 000000003BEC: 807C3080
	s_waitcnt vmcnt(22)                                        // 000000003BF0: BF8C4F76
	s_barrier                                                  // 000000003BF4: BF8A0000
	v_mfma_f32_16x16x32_fp8_fp8 v[132:135], a[168:169], a[0:1], v[132:135]// 000000003BF8: D3F30084 1E1201A8
	v_mfma_f32_16x16x32_fp8_fp8 v[132:135], a[170:171], a[2:3], v[132:135]// 000000003C00: D3F30084 1E1205AA
	buffer_load_dwordx4 a[160:163], v90, s[84:87], 0 offen     // 000000003C08: E05C1000 8095A05A
	v_mfma_f32_16x16x32_fp8_fp8 v[132:135], a[172:173], a[4:5], v[132:135]// 000000003C10: D3F30084 1E1209AC
	v_mfma_f32_16x16x32_fp8_fp8 v[132:135], a[174:175], a[6:7], v[132:135]// 000000003C18: D3F30084 1E120DAE
	ds_read_b128 a[80:83], v2 offset:20608                     // 000000003C20: DBFE5080 50000002
	ds_read_b128 a[84:87], v2 offset:20672                     // 000000003C28: DBFE50C0 54000002
	v_mfma_f32_16x16x32_fp8_fp8 v[136:139], a[168:169], a[8:9], v[136:139]// 000000003C30: D3F30088 1E2211A8
	v_mfma_f32_16x16x32_fp8_fp8 v[136:139], a[170:171], a[10:11], v[136:139]// 000000003C38: D3F30088 1E2215AA
	buffer_load_dwordx4 a[164:167], v90, s[84:87], 0 offen offset:1024// 000000003C40: E05C1400 8095A45A
	v_mfma_f32_16x16x32_fp8_fp8 v[136:139], a[172:173], a[12:13], v[136:139]// 000000003C48: D3F30088 1E2219AC
	v_mfma_f32_16x16x32_fp8_fp8 v[136:139], a[174:175], a[14:15], v[136:139]// 000000003C50: D3F30088 1E221DAE
	ds_read_b128 a[88:91], v2 offset:21120                     // 000000003C58: DBFE5280 58000002
	ds_read_b128 a[92:95], v2 offset:21184                     // 000000003C60: DBFE52C0 5C000002
	v_mfma_f32_16x16x32_fp8_fp8 v[140:143], a[168:169], a[16:17], v[140:143]// 000000003C68: D3F3008C 1E3221A8
	v_mfma_f32_16x16x32_fp8_fp8 v[140:143], a[170:171], a[18:19], v[140:143]// 000000003C70: D3F3008C 1E3225AA
	v_mfma_f32_16x16x32_fp8_fp8 v[140:143], a[172:173], a[20:21], v[140:143]// 000000003C78: D3F3008C 1E3229AC
	v_mfma_f32_16x16x32_fp8_fp8 v[140:143], a[174:175], a[22:23], v[140:143]// 000000003C80: D3F3008C 1E322DAE
	ds_read_b128 a[96:99], v2 offset:21632                     // 000000003C88: DBFE5480 60000002
	ds_read_b128 a[100:103], v2 offset:21696                   // 000000003C90: DBFE54C0 64000002
	v_mfma_f32_16x16x32_fp8_fp8 v[144:147], a[168:169], a[24:25], v[144:147]// 000000003C98: D3F30090 1E4231A8
	v_mfma_f32_16x16x32_fp8_fp8 v[144:147], a[170:171], a[26:27], v[144:147]// 000000003CA0: D3F30090 1E4235AA
	v_mfma_f32_16x16x32_fp8_fp8 v[144:147], a[172:173], a[28:29], v[144:147]// 000000003CA8: D3F30090 1E4239AC
	v_mfma_f32_16x16x32_fp8_fp8 v[144:147], a[174:175], a[30:31], v[144:147]// 000000003CB0: D3F30090 1E423DAE
	ds_read_b128 a[104:107], v2 offset:22144                   // 000000003CB8: DBFE5680 68000002
	ds_read_b128 a[108:111], v2 offset:22208                   // 000000003CC0: DBFE56C0 6C000002
	v_mfma_f32_16x16x32_fp8_fp8 v[148:151], a[168:169], a[32:33], v[148:151]// 000000003CC8: D3F30094 1E5241A8
	v_mfma_f32_16x16x32_fp8_fp8 v[148:151], a[170:171], a[34:35], v[148:151]// 000000003CD0: D3F30094 1E5245AA
	v_mfma_f32_16x16x32_fp8_fp8 v[148:151], a[172:173], a[36:37], v[148:151]// 000000003CD8: D3F30094 1E5249AC
	v_mfma_f32_16x16x32_fp8_fp8 v[148:151], a[174:175], a[38:39], v[148:151]// 000000003CE0: D3F30094 1E524DAE
	ds_read_b128 a[112:115], v2 offset:22656                   // 000000003CE8: DBFE5880 70000002
	ds_read_b128 a[116:119], v2 offset:22720                   // 000000003CF0: DBFE58C0 74000002
	v_mfma_f32_16x16x32_fp8_fp8 v[152:155], a[168:169], a[40:41], v[152:155]// 000000003CF8: D3F30098 1E6251A8
	v_mfma_f32_16x16x32_fp8_fp8 v[152:155], a[170:171], a[42:43], v[152:155]// 000000003D00: D3F30098 1E6255AA
	v_mfma_f32_16x16x32_fp8_fp8 v[152:155], a[172:173], a[44:45], v[152:155]// 000000003D08: D3F30098 1E6259AC
	v_mfma_f32_16x16x32_fp8_fp8 v[152:155], a[174:175], a[46:47], v[152:155]// 000000003D10: D3F30098 1E625DAE
	ds_read_b128 a[120:123], v2 offset:23168                   // 000000003D18: DBFE5A80 78000002
	ds_read_b128 a[124:127], v2 offset:23232                   // 000000003D20: DBFE5AC0 7C000002
	v_mfma_f32_16x16x32_fp8_fp8 v[156:159], a[168:169], a[48:49], v[156:159]// 000000003D28: D3F3009C 1E7261A8
	v_mfma_f32_16x16x32_fp8_fp8 v[156:159], a[170:171], a[50:51], v[156:159]// 000000003D30: D3F3009C 1E7265AA
	v_mfma_f32_16x16x32_fp8_fp8 v[156:159], a[172:173], a[52:53], v[156:159]// 000000003D38: D3F3009C 1E7269AC
	v_mfma_f32_16x16x32_fp8_fp8 v[156:159], a[174:175], a[54:55], v[156:159]// 000000003D40: D3F3009C 1E726DAE
	ds_read_b128 a[128:131], v2 offset:23680                   // 000000003D48: DBFE5C80 80000002
	ds_read_b128 a[132:135], v2 offset:23744                   // 000000003D50: DBFE5CC0 84000002
	v_mfma_f32_16x16x32_fp8_fp8 v[160:163], a[168:169], a[56:57], v[160:163]// 000000003D58: D3F300A0 1E8271A8
	v_mfma_f32_16x16x32_fp8_fp8 v[160:163], a[170:171], a[58:59], v[160:163]// 000000003D60: D3F300A0 1E8275AA
	v_mfma_f32_16x16x32_fp8_fp8 v[160:163], a[172:173], a[60:61], v[160:163]// 000000003D68: D3F300A0 1E8279AC
	v_mfma_f32_16x16x32_fp8_fp8 v[160:163], a[174:175], a[62:63], v[160:163]// 000000003D70: D3F300A0 1E827DAE
	ds_read_b128 a[136:139], v2 offset:24192                   // 000000003D78: DBFE5E80 88000002
	ds_read_b128 a[140:143], v2 offset:24256                   // 000000003D80: DBFE5EC0 8C000002
	v_mfma_f32_16x16x32_fp8_fp8 v[164:167], a[168:169], a[64:65], v[164:167]// 000000003D88: D3F300A4 1E9281A8
	s_add_u32 s60, 0x180, s80                                  // 000000003D90: 803C50FF 00000180
	s_cmp_lt_u32 s60, s81                                      // 000000003D98: BF0A513C
	s_cselect_b32 s57, s57, 0                                  // 000000003D9C: 85398039
	v_mfma_f32_16x16x32_fp8_fp8 v[164:167], a[170:171], a[66:67], v[164:167]// 000000003DA0: D3F300A4 1E9285AA
	s_add_u32 s60, 0x100, s80                                  // 000000003DA8: 803C50FF 00000100
	s_cmp_lt_u32 s60, s81                                      // 000000003DB0: BF0A513C
	s_cselect_b32 s58, s58, 0                                  // 000000003DB4: 853A803A
	v_mfma_f32_16x16x32_fp8_fp8 v[164:167], a[172:173], a[68:69], v[164:167]// 000000003DB8: D3F300A4 1E9289AC
	s_add_u32 s60, 0x100, s80                                  // 000000003DC0: 803C50FF 00000100
	s_cmp_lt_u32 s60, s81                                      // 000000003DC8: BF0A513C
	s_cselect_b32 s83, s83, 0                                  // 000000003DCC: 85538053
	v_mfma_f32_16x16x32_fp8_fp8 v[164:167], a[174:175], a[70:71], v[164:167]// 000000003DD0: D3F300A4 1E928DAE
	ds_read_b128 a[144:147], v2 offset:24704                   // 000000003DD8: DBFE6080 90000002
	ds_read_b128 a[148:151], v2 offset:24768                   // 000000003DE0: DBFE60C0 94000002
	s_add_u32 s24, s58, s24                                    // 000000003DE8: 8018183A
	s_addc_u32 s25, 0, s25                                     // 000000003DEC: 82191980
	v_mfma_f32_16x16x32_fp8_fp8 v[168:171], a[168:169], a[72:73], v[168:171]// 000000003DF0: D3F300A8 1EA291A8
	s_add_u32 s20, s57, s20                                    // 000000003DF8: 80141439
	s_addc_u32 s21, 0, s21                                     // 000000003DFC: 82151580
	v_mfma_f32_16x16x32_fp8_fp8 v[168:171], a[170:171], a[74:75], v[168:171]// 000000003E00: D3F300A8 1EA295AA
	s_add_u32 s84, s83, s84                                    // 000000003E08: 80545453
	s_addc_u32 s85, 0, s85                                     // 000000003E0C: 82555580
	v_mfma_f32_16x16x32_fp8_fp8 v[168:171], a[172:173], a[76:77], v[168:171]// 000000003E10: D3F300A8 1EA299AC
	v_mfma_f32_16x16x32_fp8_fp8 v[168:171], a[174:175], a[78:79], v[168:171]// 000000003E18: D3F300A8 1EA29DAE
	ds_read_b128 a[152:155], v2 offset:25216                   // 000000003E20: DBFE6280 98000002
	ds_read_b128 a[156:159], v2 offset:25280                   // 000000003E28: DBFE62C0 9C000002
	s_addk_i32 s80, 0x80                                       // 000000003E30: B7500080
	s_cmp_lt_i32 s80, s81                                      // 000000003E34: BF045150
	s_cbranch_scc0 label_0B23                                  // 000000003E38: BF840614
	s_waitcnt vmcnt(22) lgkmcnt(0)                             // 000000003E3C: BF8C4076
	v_mfma_f32_16x16x32_fp8_fp8 v[92:95], a[176:177], a[80:81], v[92:95]// 000000003E40: D3F3005C 1D72A1B0
	v_mfma_f32_16x16x32_fp8_fp8 v[92:95], a[178:179], a[82:83], v[92:95]// 000000003E48: D3F3005C 1D72A5B2
	buffer_load_dwordx4 a[168:171], v90, s[24:27], 0 offen     // 000000003E50: E05C1000 8086A85A
	v_mfma_f32_16x16x32_fp8_fp8 v[92:95], a[180:181], a[84:85], v[92:95]// 000000003E58: D3F3005C 1D72A9B4
	v_mfma_f32_16x16x32_fp8_fp8 v[92:95], a[182:183], a[86:87], v[92:95]// 000000003E60: D3F3005C 1D72ADB6
	v_mfma_f32_16x16x32_fp8_fp8 v[96:99], a[176:177], a[88:89], v[96:99]// 000000003E68: D3F30060 1D82B1B0
	v_mfma_f32_16x16x32_fp8_fp8 v[96:99], a[178:179], a[90:91], v[96:99]// 000000003E70: D3F30060 1D82B5B2
	buffer_load_dwordx4 a[172:175], v90, s[24:27], 0 offen offset:1024// 000000003E78: E05C1400 8086AC5A
	buffer_load_dword v70, s[20:23], 0 offen lds               // 000000003E80: E0511000 80050046
	s_add_u32 m0, 0x100, s48                                   // 000000003E88: 807C30FF 00000100
	v_mfma_f32_16x16x32_fp8_fp8 v[96:99], a[180:181], a[92:93], v[96:99]// 000000003E90: D3F30060 1D82B9B4
	v_mfma_f32_16x16x32_fp8_fp8 v[96:99], a[182:183], a[94:95], v[96:99]// 000000003E98: D3F30060 1D82BDB6
	buffer_load_dword v71, s[20:23], 0 offen lds               // 000000003EA0: E0511000 80050047
	s_add_u32 m0, 0x200, s48                                   // 000000003EA8: 807C30FF 00000200
	v_mfma_f32_16x16x32_fp8_fp8 v[100:103], a[176:177], a[96:97], v[100:103]// 000000003EB0: D3F30064 1D92C1B0
	v_mfma_f32_16x16x32_fp8_fp8 v[100:103], a[178:179], a[98:99], v[100:103]// 000000003EB8: D3F30064 1D92C5B2
	buffer_load_dword v72, s[20:23], 0 offen lds               // 000000003EC0: E0511000 80050048
	s_add_u32 m0, 0x300, s48                                   // 000000003EC8: 807C30FF 00000300
	v_mfma_f32_16x16x32_fp8_fp8 v[100:103], a[180:181], a[100:101], v[100:103]// 000000003ED0: D3F30064 1D92C9B4
	v_mfma_f32_16x16x32_fp8_fp8 v[100:103], a[182:183], a[102:103], v[100:103]// 000000003ED8: D3F30064 1D92CDB6
	buffer_load_dword v73, s[20:23], 0 offen lds               // 000000003EE0: E0511000 80050049
	s_add_u32 m0, 0x400, s48                                   // 000000003EE8: 807C30FF 00000400
	v_mfma_f32_16x16x32_fp8_fp8 v[104:107], a[176:177], a[104:105], v[104:107]// 000000003EF0: D3F30068 1DA2D1B0
	v_mfma_f32_16x16x32_fp8_fp8 v[104:107], a[178:179], a[106:107], v[104:107]// 000000003EF8: D3F30068 1DA2D5B2
	buffer_load_dword v74, s[20:23], 0 offen lds               // 000000003F00: E0511000 8005004A
	s_add_u32 m0, 0x500, s48                                   // 000000003F08: 807C30FF 00000500
	v_mfma_f32_16x16x32_fp8_fp8 v[104:107], a[180:181], a[108:109], v[104:107]// 000000003F10: D3F30068 1DA2D9B4
	v_mfma_f32_16x16x32_fp8_fp8 v[104:107], a[182:183], a[110:111], v[104:107]// 000000003F18: D3F30068 1DA2DDB6
	buffer_load_dword v75, s[20:23], 0 offen lds               // 000000003F20: E0511000 8005004B
	s_add_u32 m0, 0x600, s48                                   // 000000003F28: 807C30FF 00000600
	v_mfma_f32_16x16x32_fp8_fp8 v[108:111], a[176:177], a[112:113], v[108:111]// 000000003F30: D3F3006C 1DB2E1B0
	v_mfma_f32_16x16x32_fp8_fp8 v[108:111], a[178:179], a[114:115], v[108:111]// 000000003F38: D3F3006C 1DB2E5B2
	buffer_load_dword v76, s[20:23], 0 offen lds               // 000000003F40: E0511000 8005004C
	s_add_u32 m0, 0x700, s48                                   // 000000003F48: 807C30FF 00000700
	v_mfma_f32_16x16x32_fp8_fp8 v[108:111], a[180:181], a[116:117], v[108:111]// 000000003F50: D3F3006C 1DB2E9B4
	v_mfma_f32_16x16x32_fp8_fp8 v[108:111], a[182:183], a[118:119], v[108:111]// 000000003F58: D3F3006C 1DB2EDB6
	buffer_load_dword v77, s[20:23], 0 offen lds               // 000000003F60: E0511000 8005004D
	s_add_u32 m0, 0x800, s48                                   // 000000003F68: 807C30FF 00000800
	v_mfma_f32_16x16x32_fp8_fp8 v[112:115], a[176:177], a[120:121], v[112:115]// 000000003F70: D3F30070 1DC2F1B0
	v_mfma_f32_16x16x32_fp8_fp8 v[112:115], a[178:179], a[122:123], v[112:115]// 000000003F78: D3F30070 1DC2F5B2
	buffer_load_dword v78, s[20:23], 0 offen lds               // 000000003F80: E0511000 8005004E
	s_add_u32 m0, 0x900, s48                                   // 000000003F88: 807C30FF 00000900
	v_mfma_f32_16x16x32_fp8_fp8 v[112:115], a[180:181], a[124:125], v[112:115]// 000000003F90: D3F30070 1DC2F9B4
	v_mfma_f32_16x16x32_fp8_fp8 v[112:115], a[182:183], a[126:127], v[112:115]// 000000003F98: D3F30070 1DC2FDB6
	buffer_load_dword v79, s[20:23], 0 offen lds               // 000000003FA0: E0511000 8005004F
	s_add_u32 m0, 0xa00, s48                                   // 000000003FA8: 807C30FF 00000A00
	v_mfma_f32_16x16x32_fp8_fp8 v[116:119], a[176:177], a[128:129], v[116:119]// 000000003FB0: D3F30074 1DD301B0
	v_mfma_f32_16x16x32_fp8_fp8 v[116:119], a[178:179], a[130:131], v[116:119]// 000000003FB8: D3F30074 1DD305B2
	buffer_load_dword v80, s[20:23], 0 offen lds               // 000000003FC0: E0511000 80050050
	s_add_u32 m0, 0xb00, s48                                   // 000000003FC8: 807C30FF 00000B00
	v_mfma_f32_16x16x32_fp8_fp8 v[116:119], a[180:181], a[132:133], v[116:119]// 000000003FD0: D3F30074 1DD309B4
	v_mfma_f32_16x16x32_fp8_fp8 v[116:119], a[182:183], a[134:135], v[116:119]// 000000003FD8: D3F30074 1DD30DB6
	buffer_load_dword v81, s[20:23], 0 offen lds               // 000000003FE0: E0511000 80050051
	s_add_u32 m0, 0xc00, s48                                   // 000000003FE8: 807C30FF 00000C00
	v_mfma_f32_16x16x32_fp8_fp8 v[120:123], a[176:177], a[136:137], v[120:123]// 000000003FF0: D3F30078 1DE311B0
	v_mfma_f32_16x16x32_fp8_fp8 v[120:123], a[178:179], a[138:139], v[120:123]// 000000003FF8: D3F30078 1DE315B2
	buffer_load_dword v82, s[20:23], 0 offen lds               // 000000004000: E0511000 80050052
	s_add_u32 m0, 0xd00, s48                                   // 000000004008: 807C30FF 00000D00
	v_mfma_f32_16x16x32_fp8_fp8 v[120:123], a[180:181], a[140:141], v[120:123]// 000000004010: D3F30078 1DE319B4
	v_mfma_f32_16x16x32_fp8_fp8 v[120:123], a[182:183], a[142:143], v[120:123]// 000000004018: D3F30078 1DE31DB6
	buffer_load_dword v83, s[20:23], 0 offen lds               // 000000004020: E0511000 80050053
	s_add_u32 m0, 0xe00, s48                                   // 000000004028: 807C30FF 00000E00
	v_mfma_f32_16x16x32_fp8_fp8 v[124:127], a[176:177], a[144:145], v[124:127]// 000000004030: D3F3007C 1DF321B0
	v_mfma_f32_16x16x32_fp8_fp8 v[124:127], a[178:179], a[146:147], v[124:127]// 000000004038: D3F3007C 1DF325B2
	buffer_load_dword v84, s[20:23], 0 offen lds               // 000000004040: E0511000 80050054
	s_add_u32 m0, 0xf00, s48                                   // 000000004048: 807C30FF 00000F00
	v_mfma_f32_16x16x32_fp8_fp8 v[124:127], a[180:181], a[148:149], v[124:127]// 000000004050: D3F3007C 1DF329B4
	v_mfma_f32_16x16x32_fp8_fp8 v[124:127], a[182:183], a[150:151], v[124:127]// 000000004058: D3F3007C 1DF32DB6
	buffer_load_dword v85, s[20:23], 0 offen lds               // 000000004060: E0511000 80050055
	s_add_u32 m0, 0x1000, s48                                  // 000000004068: 807C30FF 00001000
	v_mfma_f32_16x16x32_fp8_fp8 v[128:131], a[176:177], a[152:153], v[128:131]// 000000004070: D3F30080 1E0331B0
	v_mfma_f32_16x16x32_fp8_fp8 v[128:131], a[178:179], a[154:155], v[128:131]// 000000004078: D3F30080 1E0335B2
	buffer_load_dword v86, s[20:23], 0 offen lds               // 000000004080: E0511000 80050056
	s_add_u32 m0, 0x1100, s48                                  // 000000004088: 807C30FF 00001100
	v_mfma_f32_16x16x32_fp8_fp8 v[128:131], a[180:181], a[156:157], v[128:131]// 000000004090: D3F30080 1E0339B4
	v_mfma_f32_16x16x32_fp8_fp8 v[128:131], a[182:183], a[158:159], v[128:131]// 000000004098: D3F30080 1E033DB6
	buffer_load_dword v87, s[20:23], 0 offen lds               // 0000000040A0: E0511000 80050057
	s_add_u32 m0, 0x1200, s48                                  // 0000000040A8: 807C30FF 00001200
	buffer_load_dword v88, s[20:23], 0 offen lds               // 0000000040B0: E0511000 80050058
	s_add_u32 m0, 0x1300, s48                                  // 0000000040B8: 807C30FF 00001300
	buffer_load_dword v89, s[20:23], 0 offen lds               // 0000000040C0: E0511000 80050059
	s_add_u32 m0, 0, s49                                       // 0000000040C8: 807C3180
	s_waitcnt vmcnt(22)                                        // 0000000040CC: BF8C4F76
	s_barrier                                                  // 0000000040D0: BF8A0000
	v_mfma_f32_16x16x32_fp8_fp8 v[132:135], a[160:161], a[80:81], v[132:135]// 0000000040D4: D3F30084 1E12A1A0
	v_mfma_f32_16x16x32_fp8_fp8 v[132:135], a[162:163], a[82:83], v[132:135]// 0000000040DC: D3F30084 1E12A5A2
	buffer_load_dwordx4 a[176:179], v90, s[84:87], 0 offen     // 0000000040E4: E05C1000 8095B05A
	v_mfma_f32_16x16x32_fp8_fp8 v[132:135], a[164:165], a[84:85], v[132:135]// 0000000040EC: D3F30084 1E12A9A4
	v_mfma_f32_16x16x32_fp8_fp8 v[132:135], a[166:167], a[86:87], v[132:135]// 0000000040F4: D3F30084 1E12ADA6
	ds_read_b128 a[0:3], v2 offset:41216                       // 0000000040FC: DBFEA100 00000002
	ds_read_b128 a[4:7], v2 offset:41280                       // 000000004104: DBFEA140 04000002
	v_mfma_f32_16x16x32_fp8_fp8 v[136:139], a[160:161], a[88:89], v[136:139]// 00000000410C: D3F30088 1E22B1A0
	v_mfma_f32_16x16x32_fp8_fp8 v[136:139], a[162:163], a[90:91], v[136:139]// 000000004114: D3F30088 1E22B5A2
	buffer_load_dwordx4 a[180:183], v90, s[84:87], 0 offen offset:1024// 00000000411C: E05C1400 8095B45A
	v_mfma_f32_16x16x32_fp8_fp8 v[136:139], a[164:165], a[92:93], v[136:139]// 000000004124: D3F30088 1E22B9A4
	v_mfma_f32_16x16x32_fp8_fp8 v[136:139], a[166:167], a[94:95], v[136:139]// 00000000412C: D3F30088 1E22BDA6
	ds_read_b128 a[8:11], v2 offset:41728                      // 000000004134: DBFEA300 08000002
	ds_read_b128 a[12:15], v2 offset:41792                     // 00000000413C: DBFEA340 0C000002
	v_mfma_f32_16x16x32_fp8_fp8 v[140:143], a[160:161], a[96:97], v[140:143]// 000000004144: D3F3008C 1E32C1A0
	v_mfma_f32_16x16x32_fp8_fp8 v[140:143], a[162:163], a[98:99], v[140:143]// 00000000414C: D3F3008C 1E32C5A2
	v_mfma_f32_16x16x32_fp8_fp8 v[140:143], a[164:165], a[100:101], v[140:143]// 000000004154: D3F3008C 1E32C9A4
	v_mfma_f32_16x16x32_fp8_fp8 v[140:143], a[166:167], a[102:103], v[140:143]// 00000000415C: D3F3008C 1E32CDA6
	ds_read_b128 a[16:19], v2 offset:42240                     // 000000004164: DBFEA500 10000002
	ds_read_b128 a[20:23], v2 offset:42304                     // 00000000416C: DBFEA540 14000002
	v_mfma_f32_16x16x32_fp8_fp8 v[144:147], a[160:161], a[104:105], v[144:147]// 000000004174: D3F30090 1E42D1A0
	v_mfma_f32_16x16x32_fp8_fp8 v[144:147], a[162:163], a[106:107], v[144:147]// 00000000417C: D3F30090 1E42D5A2
	v_mfma_f32_16x16x32_fp8_fp8 v[144:147], a[164:165], a[108:109], v[144:147]// 000000004184: D3F30090 1E42D9A4
	v_mfma_f32_16x16x32_fp8_fp8 v[144:147], a[166:167], a[110:111], v[144:147]// 00000000418C: D3F30090 1E42DDA6
	ds_read_b128 a[24:27], v2 offset:42752                     // 000000004194: DBFEA700 18000002
	ds_read_b128 a[28:31], v2 offset:42816                     // 00000000419C: DBFEA740 1C000002
	v_mfma_f32_16x16x32_fp8_fp8 v[148:151], a[160:161], a[112:113], v[148:151]// 0000000041A4: D3F30094 1E52E1A0
	v_mfma_f32_16x16x32_fp8_fp8 v[148:151], a[162:163], a[114:115], v[148:151]// 0000000041AC: D3F30094 1E52E5A2
	v_mfma_f32_16x16x32_fp8_fp8 v[148:151], a[164:165], a[116:117], v[148:151]// 0000000041B4: D3F30094 1E52E9A4
	v_mfma_f32_16x16x32_fp8_fp8 v[148:151], a[166:167], a[118:119], v[148:151]// 0000000041BC: D3F30094 1E52EDA6
	ds_read_b128 a[32:35], v2 offset:43264                     // 0000000041C4: DBFEA900 20000002
	ds_read_b128 a[36:39], v2 offset:43328                     // 0000000041CC: DBFEA940 24000002
	v_mfma_f32_16x16x32_fp8_fp8 v[152:155], a[160:161], a[120:121], v[152:155]// 0000000041D4: D3F30098 1E62F1A0
	v_mfma_f32_16x16x32_fp8_fp8 v[152:155], a[162:163], a[122:123], v[152:155]// 0000000041DC: D3F30098 1E62F5A2
	v_mfma_f32_16x16x32_fp8_fp8 v[152:155], a[164:165], a[124:125], v[152:155]// 0000000041E4: D3F30098 1E62F9A4
	v_mfma_f32_16x16x32_fp8_fp8 v[152:155], a[166:167], a[126:127], v[152:155]// 0000000041EC: D3F30098 1E62FDA6
	ds_read_b128 a[40:43], v2 offset:43776                     // 0000000041F4: DBFEAB00 28000002
	ds_read_b128 a[44:47], v2 offset:43840                     // 0000000041FC: DBFEAB40 2C000002
	v_mfma_f32_16x16x32_fp8_fp8 v[156:159], a[160:161], a[128:129], v[156:159]// 000000004204: D3F3009C 1E7301A0
	v_mfma_f32_16x16x32_fp8_fp8 v[156:159], a[162:163], a[130:131], v[156:159]// 00000000420C: D3F3009C 1E7305A2
	v_mfma_f32_16x16x32_fp8_fp8 v[156:159], a[164:165], a[132:133], v[156:159]// 000000004214: D3F3009C 1E7309A4
	v_mfma_f32_16x16x32_fp8_fp8 v[156:159], a[166:167], a[134:135], v[156:159]// 00000000421C: D3F3009C 1E730DA6
	ds_read_b128 a[48:51], v2 offset:44288                     // 000000004224: DBFEAD00 30000002
	ds_read_b128 a[52:55], v2 offset:44352                     // 00000000422C: DBFEAD40 34000002
	v_mfma_f32_16x16x32_fp8_fp8 v[160:163], a[160:161], a[136:137], v[160:163]// 000000004234: D3F300A0 1E8311A0
	v_mfma_f32_16x16x32_fp8_fp8 v[160:163], a[162:163], a[138:139], v[160:163]// 00000000423C: D3F300A0 1E8315A2
	v_mfma_f32_16x16x32_fp8_fp8 v[160:163], a[164:165], a[140:141], v[160:163]// 000000004244: D3F300A0 1E8319A4
	v_mfma_f32_16x16x32_fp8_fp8 v[160:163], a[166:167], a[142:143], v[160:163]// 00000000424C: D3F300A0 1E831DA6
	ds_read_b128 a[56:59], v2 offset:44800                     // 000000004254: DBFEAF00 38000002
	ds_read_b128 a[60:63], v2 offset:44864                     // 00000000425C: DBFEAF40 3C000002
	v_mfma_f32_16x16x32_fp8_fp8 v[164:167], a[160:161], a[144:145], v[164:167]// 000000004264: D3F300A4 1E9321A0
	s_add_u32 s60, 0x180, s80                                  // 00000000426C: 803C50FF 00000180
	s_cmp_lt_u32 s60, s81                                      // 000000004274: BF0A513C
	s_cselect_b32 s57, s57, 0                                  // 000000004278: 85398039
	v_mfma_f32_16x16x32_fp8_fp8 v[164:167], a[162:163], a[146:147], v[164:167]// 00000000427C: D3F300A4 1E9325A2
	s_add_u32 s60, 0x100, s80                                  // 000000004284: 803C50FF 00000100
	s_cmp_lt_u32 s60, s81                                      // 00000000428C: BF0A513C
	s_cselect_b32 s58, s58, 0                                  // 000000004290: 853A803A
	v_mfma_f32_16x16x32_fp8_fp8 v[164:167], a[164:165], a[148:149], v[164:167]// 000000004294: D3F300A4 1E9329A4
	s_add_u32 s60, 0x100, s80                                  // 00000000429C: 803C50FF 00000100
	s_cmp_lt_u32 s60, s81                                      // 0000000042A4: BF0A513C
	s_cselect_b32 s83, s83, 0                                  // 0000000042A8: 85538053
	v_mfma_f32_16x16x32_fp8_fp8 v[164:167], a[166:167], a[150:151], v[164:167]// 0000000042AC: D3F300A4 1E932DA6
	ds_read_b128 a[64:67], v2 offset:45312                     // 0000000042B4: DBFEB100 40000002
	ds_read_b128 a[68:71], v2 offset:45376                     // 0000000042BC: DBFEB140 44000002
	s_add_u32 s24, s58, s24                                    // 0000000042C4: 8018183A
	s_addc_u32 s25, 0, s25                                     // 0000000042C8: 82191980
	v_mfma_f32_16x16x32_fp8_fp8 v[168:171], a[160:161], a[152:153], v[168:171]// 0000000042CC: D3F300A8 1EA331A0
	s_add_u32 s20, s57, s20                                    // 0000000042D4: 80141439
	s_addc_u32 s21, 0, s21                                     // 0000000042D8: 82151580
	v_mfma_f32_16x16x32_fp8_fp8 v[168:171], a[162:163], a[154:155], v[168:171]// 0000000042DC: D3F300A8 1EA335A2
	s_add_u32 s84, s83, s84                                    // 0000000042E4: 80545453
	s_addc_u32 s85, 0, s85                                     // 0000000042E8: 82555580
	v_mfma_f32_16x16x32_fp8_fp8 v[168:171], a[164:165], a[156:157], v[168:171]// 0000000042EC: D3F300A8 1EA339A4
	v_mfma_f32_16x16x32_fp8_fp8 v[168:171], a[166:167], a[158:159], v[168:171]// 0000000042F4: D3F300A8 1EA33DA6
	ds_read_b128 a[72:75], v2 offset:45824                     // 0000000042FC: DBFEB300 48000002
	ds_read_b128 a[76:79], v2 offset:45888                     // 000000004304: DBFEB340 4C000002
	s_addk_i32 s80, 0x80                                       // 00000000430C: B7500080
	s_cmp_lt_i32 s80, s81                                      // 000000004310: BF045150
	s_cbranch_scc0 label_0B23                                  // 000000004314: BF8404DD
	s_waitcnt vmcnt(22) lgkmcnt(0)                             // 000000004318: BF8C4076
	v_mfma_f32_16x16x32_fp8_fp8 v[92:95], a[168:169], a[0:1], v[92:95]// 00000000431C: D3F3005C 1D7201A8
	v_mfma_f32_16x16x32_fp8_fp8 v[92:95], a[170:171], a[2:3], v[92:95]// 000000004324: D3F3005C 1D7205AA
	buffer_load_dwordx4 a[160:163], v90, s[24:27], 0 offen     // 00000000432C: E05C1000 8086A05A
	v_mfma_f32_16x16x32_fp8_fp8 v[92:95], a[172:173], a[4:5], v[92:95]// 000000004334: D3F3005C 1D7209AC
	v_mfma_f32_16x16x32_fp8_fp8 v[92:95], a[174:175], a[6:7], v[92:95]// 00000000433C: D3F3005C 1D720DAE
	v_mfma_f32_16x16x32_fp8_fp8 v[96:99], a[168:169], a[8:9], v[96:99]// 000000004344: D3F30060 1D8211A8
	v_mfma_f32_16x16x32_fp8_fp8 v[96:99], a[170:171], a[10:11], v[96:99]// 00000000434C: D3F30060 1D8215AA
	buffer_load_dwordx4 a[164:167], v90, s[24:27], 0 offen offset:1024// 000000004354: E05C1400 8086A45A
	buffer_load_dword v70, s[20:23], 0 offen lds               // 00000000435C: E0511000 80050046
	s_add_u32 m0, 0x100, s49                                   // 000000004364: 807C31FF 00000100
	v_mfma_f32_16x16x32_fp8_fp8 v[96:99], a[172:173], a[12:13], v[96:99]// 00000000436C: D3F30060 1D8219AC
	v_mfma_f32_16x16x32_fp8_fp8 v[96:99], a[174:175], a[14:15], v[96:99]// 000000004374: D3F30060 1D821DAE
	buffer_load_dword v71, s[20:23], 0 offen lds               // 00000000437C: E0511000 80050047
	s_add_u32 m0, 0x200, s49                                   // 000000004384: 807C31FF 00000200
	v_mfma_f32_16x16x32_fp8_fp8 v[100:103], a[168:169], a[16:17], v[100:103]// 00000000438C: D3F30064 1D9221A8
	v_mfma_f32_16x16x32_fp8_fp8 v[100:103], a[170:171], a[18:19], v[100:103]// 000000004394: D3F30064 1D9225AA
	buffer_load_dword v72, s[20:23], 0 offen lds               // 00000000439C: E0511000 80050048
	s_add_u32 m0, 0x300, s49                                   // 0000000043A4: 807C31FF 00000300
	v_mfma_f32_16x16x32_fp8_fp8 v[100:103], a[172:173], a[20:21], v[100:103]// 0000000043AC: D3F30064 1D9229AC
	v_mfma_f32_16x16x32_fp8_fp8 v[100:103], a[174:175], a[22:23], v[100:103]// 0000000043B4: D3F30064 1D922DAE
	buffer_load_dword v73, s[20:23], 0 offen lds               // 0000000043BC: E0511000 80050049
	s_add_u32 m0, 0x400, s49                                   // 0000000043C4: 807C31FF 00000400
	v_mfma_f32_16x16x32_fp8_fp8 v[104:107], a[168:169], a[24:25], v[104:107]// 0000000043CC: D3F30068 1DA231A8
	v_mfma_f32_16x16x32_fp8_fp8 v[104:107], a[170:171], a[26:27], v[104:107]// 0000000043D4: D3F30068 1DA235AA
	buffer_load_dword v74, s[20:23], 0 offen lds               // 0000000043DC: E0511000 8005004A
	s_add_u32 m0, 0x500, s49                                   // 0000000043E4: 807C31FF 00000500
	v_mfma_f32_16x16x32_fp8_fp8 v[104:107], a[172:173], a[28:29], v[104:107]// 0000000043EC: D3F30068 1DA239AC
	v_mfma_f32_16x16x32_fp8_fp8 v[104:107], a[174:175], a[30:31], v[104:107]// 0000000043F4: D3F30068 1DA23DAE
	buffer_load_dword v75, s[20:23], 0 offen lds               // 0000000043FC: E0511000 8005004B
	s_add_u32 m0, 0x600, s49                                   // 000000004404: 807C31FF 00000600
	v_mfma_f32_16x16x32_fp8_fp8 v[108:111], a[168:169], a[32:33], v[108:111]// 00000000440C: D3F3006C 1DB241A8
	v_mfma_f32_16x16x32_fp8_fp8 v[108:111], a[170:171], a[34:35], v[108:111]// 000000004414: D3F3006C 1DB245AA
	buffer_load_dword v76, s[20:23], 0 offen lds               // 00000000441C: E0511000 8005004C
	s_add_u32 m0, 0x700, s49                                   // 000000004424: 807C31FF 00000700
	v_mfma_f32_16x16x32_fp8_fp8 v[108:111], a[172:173], a[36:37], v[108:111]// 00000000442C: D3F3006C 1DB249AC
	v_mfma_f32_16x16x32_fp8_fp8 v[108:111], a[174:175], a[38:39], v[108:111]// 000000004434: D3F3006C 1DB24DAE
	buffer_load_dword v77, s[20:23], 0 offen lds               // 00000000443C: E0511000 8005004D
	s_add_u32 m0, 0x800, s49                                   // 000000004444: 807C31FF 00000800
	v_mfma_f32_16x16x32_fp8_fp8 v[112:115], a[168:169], a[40:41], v[112:115]// 00000000444C: D3F30070 1DC251A8
	v_mfma_f32_16x16x32_fp8_fp8 v[112:115], a[170:171], a[42:43], v[112:115]// 000000004454: D3F30070 1DC255AA
	buffer_load_dword v78, s[20:23], 0 offen lds               // 00000000445C: E0511000 8005004E
	s_add_u32 m0, 0x900, s49                                   // 000000004464: 807C31FF 00000900
	v_mfma_f32_16x16x32_fp8_fp8 v[112:115], a[172:173], a[44:45], v[112:115]// 00000000446C: D3F30070 1DC259AC
	v_mfma_f32_16x16x32_fp8_fp8 v[112:115], a[174:175], a[46:47], v[112:115]// 000000004474: D3F30070 1DC25DAE
	buffer_load_dword v79, s[20:23], 0 offen lds               // 00000000447C: E0511000 8005004F
	s_add_u32 m0, 0xa00, s49                                   // 000000004484: 807C31FF 00000A00
	v_mfma_f32_16x16x32_fp8_fp8 v[116:119], a[168:169], a[48:49], v[116:119]// 00000000448C: D3F30074 1DD261A8
	v_mfma_f32_16x16x32_fp8_fp8 v[116:119], a[170:171], a[50:51], v[116:119]// 000000004494: D3F30074 1DD265AA
	buffer_load_dword v80, s[20:23], 0 offen lds               // 00000000449C: E0511000 80050050
	s_add_u32 m0, 0xb00, s49                                   // 0000000044A4: 807C31FF 00000B00
	v_mfma_f32_16x16x32_fp8_fp8 v[116:119], a[172:173], a[52:53], v[116:119]// 0000000044AC: D3F30074 1DD269AC
	v_mfma_f32_16x16x32_fp8_fp8 v[116:119], a[174:175], a[54:55], v[116:119]// 0000000044B4: D3F30074 1DD26DAE
	buffer_load_dword v81, s[20:23], 0 offen lds               // 0000000044BC: E0511000 80050051
	s_add_u32 m0, 0xc00, s49                                   // 0000000044C4: 807C31FF 00000C00
	v_mfma_f32_16x16x32_fp8_fp8 v[120:123], a[168:169], a[56:57], v[120:123]// 0000000044CC: D3F30078 1DE271A8
	v_mfma_f32_16x16x32_fp8_fp8 v[120:123], a[170:171], a[58:59], v[120:123]// 0000000044D4: D3F30078 1DE275AA
	buffer_load_dword v82, s[20:23], 0 offen lds               // 0000000044DC: E0511000 80050052
	s_add_u32 m0, 0xd00, s49                                   // 0000000044E4: 807C31FF 00000D00
	v_mfma_f32_16x16x32_fp8_fp8 v[120:123], a[172:173], a[60:61], v[120:123]// 0000000044EC: D3F30078 1DE279AC
	v_mfma_f32_16x16x32_fp8_fp8 v[120:123], a[174:175], a[62:63], v[120:123]// 0000000044F4: D3F30078 1DE27DAE
	buffer_load_dword v83, s[20:23], 0 offen lds               // 0000000044FC: E0511000 80050053
	s_add_u32 m0, 0xe00, s49                                   // 000000004504: 807C31FF 00000E00
	v_mfma_f32_16x16x32_fp8_fp8 v[124:127], a[168:169], a[64:65], v[124:127]// 00000000450C: D3F3007C 1DF281A8
	v_mfma_f32_16x16x32_fp8_fp8 v[124:127], a[170:171], a[66:67], v[124:127]// 000000004514: D3F3007C 1DF285AA
	buffer_load_dword v84, s[20:23], 0 offen lds               // 00000000451C: E0511000 80050054
	s_add_u32 m0, 0xf00, s49                                   // 000000004524: 807C31FF 00000F00
	v_mfma_f32_16x16x32_fp8_fp8 v[124:127], a[172:173], a[68:69], v[124:127]// 00000000452C: D3F3007C 1DF289AC
	v_mfma_f32_16x16x32_fp8_fp8 v[124:127], a[174:175], a[70:71], v[124:127]// 000000004534: D3F3007C 1DF28DAE
	buffer_load_dword v85, s[20:23], 0 offen lds               // 00000000453C: E0511000 80050055
	s_add_u32 m0, 0x1000, s49                                  // 000000004544: 807C31FF 00001000
	v_mfma_f32_16x16x32_fp8_fp8 v[128:131], a[168:169], a[72:73], v[128:131]// 00000000454C: D3F30080 1E0291A8
	v_mfma_f32_16x16x32_fp8_fp8 v[128:131], a[170:171], a[74:75], v[128:131]// 000000004554: D3F30080 1E0295AA
	buffer_load_dword v86, s[20:23], 0 offen lds               // 00000000455C: E0511000 80050056
	s_add_u32 m0, 0x1100, s49                                  // 000000004564: 807C31FF 00001100
	v_mfma_f32_16x16x32_fp8_fp8 v[128:131], a[172:173], a[76:77], v[128:131]// 00000000456C: D3F30080 1E0299AC
	v_mfma_f32_16x16x32_fp8_fp8 v[128:131], a[174:175], a[78:79], v[128:131]// 000000004574: D3F30080 1E029DAE
	buffer_load_dword v87, s[20:23], 0 offen lds               // 00000000457C: E0511000 80050057
	s_add_u32 m0, 0x1200, s49                                  // 000000004584: 807C31FF 00001200
	buffer_load_dword v88, s[20:23], 0 offen lds               // 00000000458C: E0511000 80050058
	s_add_u32 m0, 0x1300, s49                                  // 000000004594: 807C31FF 00001300
	buffer_load_dword v89, s[20:23], 0 offen lds               // 00000000459C: E0511000 80050059
	s_add_u32 m0, 0, s50                                       // 0000000045A4: 807C3280
	s_waitcnt vmcnt(22)                                        // 0000000045A8: BF8C4F76
	s_barrier                                                  // 0000000045AC: BF8A0000
	v_mfma_f32_16x16x32_fp8_fp8 v[132:135], a[176:177], a[0:1], v[132:135]// 0000000045B0: D3F30084 1E1201B0
	v_mfma_f32_16x16x32_fp8_fp8 v[132:135], a[178:179], a[2:3], v[132:135]// 0000000045B8: D3F30084 1E1205B2
	buffer_load_dwordx4 a[168:171], v90, s[84:87], 0 offen     // 0000000045C0: E05C1000 8095A85A
	v_mfma_f32_16x16x32_fp8_fp8 v[132:135], a[180:181], a[4:5], v[132:135]// 0000000045C8: D3F30084 1E1209B4
	v_mfma_f32_16x16x32_fp8_fp8 v[132:135], a[182:183], a[6:7], v[132:135]// 0000000045D0: D3F30084 1E120DB6
	ds_read_b128 a[80:83], v2                                  // 0000000045D8: DBFE0000 50000002
	ds_read_b128 a[84:87], v2 offset:64                        // 0000000045E0: DBFE0040 54000002
	v_mfma_f32_16x16x32_fp8_fp8 v[136:139], a[176:177], a[8:9], v[136:139]// 0000000045E8: D3F30088 1E2211B0
	v_mfma_f32_16x16x32_fp8_fp8 v[136:139], a[178:179], a[10:11], v[136:139]// 0000000045F0: D3F30088 1E2215B2
	buffer_load_dwordx4 a[172:175], v90, s[84:87], 0 offen offset:1024// 0000000045F8: E05C1400 8095AC5A
	v_mfma_f32_16x16x32_fp8_fp8 v[136:139], a[180:181], a[12:13], v[136:139]// 000000004600: D3F30088 1E2219B4
	v_mfma_f32_16x16x32_fp8_fp8 v[136:139], a[182:183], a[14:15], v[136:139]// 000000004608: D3F30088 1E221DB6
	ds_read_b128 a[88:91], v2 offset:512                       // 000000004610: DBFE0200 58000002
	ds_read_b128 a[92:95], v2 offset:576                       // 000000004618: DBFE0240 5C000002
	v_mfma_f32_16x16x32_fp8_fp8 v[140:143], a[176:177], a[16:17], v[140:143]// 000000004620: D3F3008C 1E3221B0
	v_mfma_f32_16x16x32_fp8_fp8 v[140:143], a[178:179], a[18:19], v[140:143]// 000000004628: D3F3008C 1E3225B2
	v_mfma_f32_16x16x32_fp8_fp8 v[140:143], a[180:181], a[20:21], v[140:143]// 000000004630: D3F3008C 1E3229B4
	v_mfma_f32_16x16x32_fp8_fp8 v[140:143], a[182:183], a[22:23], v[140:143]// 000000004638: D3F3008C 1E322DB6
	ds_read_b128 a[96:99], v2 offset:1024                      // 000000004640: DBFE0400 60000002
	ds_read_b128 a[100:103], v2 offset:1088                    // 000000004648: DBFE0440 64000002
	v_mfma_f32_16x16x32_fp8_fp8 v[144:147], a[176:177], a[24:25], v[144:147]// 000000004650: D3F30090 1E4231B0
	v_mfma_f32_16x16x32_fp8_fp8 v[144:147], a[178:179], a[26:27], v[144:147]// 000000004658: D3F30090 1E4235B2
	v_mfma_f32_16x16x32_fp8_fp8 v[144:147], a[180:181], a[28:29], v[144:147]// 000000004660: D3F30090 1E4239B4
	v_mfma_f32_16x16x32_fp8_fp8 v[144:147], a[182:183], a[30:31], v[144:147]// 000000004668: D3F30090 1E423DB6
	ds_read_b128 a[104:107], v2 offset:1536                    // 000000004670: DBFE0600 68000002
	ds_read_b128 a[108:111], v2 offset:1600                    // 000000004678: DBFE0640 6C000002
	v_mfma_f32_16x16x32_fp8_fp8 v[148:151], a[176:177], a[32:33], v[148:151]// 000000004680: D3F30094 1E5241B0
	v_mfma_f32_16x16x32_fp8_fp8 v[148:151], a[178:179], a[34:35], v[148:151]// 000000004688: D3F30094 1E5245B2
	v_mfma_f32_16x16x32_fp8_fp8 v[148:151], a[180:181], a[36:37], v[148:151]// 000000004690: D3F30094 1E5249B4
	v_mfma_f32_16x16x32_fp8_fp8 v[148:151], a[182:183], a[38:39], v[148:151]// 000000004698: D3F30094 1E524DB6
	ds_read_b128 a[112:115], v2 offset:2048                    // 0000000046A0: DBFE0800 70000002
	ds_read_b128 a[116:119], v2 offset:2112                    // 0000000046A8: DBFE0840 74000002
	v_mfma_f32_16x16x32_fp8_fp8 v[152:155], a[176:177], a[40:41], v[152:155]// 0000000046B0: D3F30098 1E6251B0
	v_mfma_f32_16x16x32_fp8_fp8 v[152:155], a[178:179], a[42:43], v[152:155]// 0000000046B8: D3F30098 1E6255B2
	v_mfma_f32_16x16x32_fp8_fp8 v[152:155], a[180:181], a[44:45], v[152:155]// 0000000046C0: D3F30098 1E6259B4
	v_mfma_f32_16x16x32_fp8_fp8 v[152:155], a[182:183], a[46:47], v[152:155]// 0000000046C8: D3F30098 1E625DB6
	ds_read_b128 a[120:123], v2 offset:2560                    // 0000000046D0: DBFE0A00 78000002
	ds_read_b128 a[124:127], v2 offset:2624                    // 0000000046D8: DBFE0A40 7C000002
	v_mfma_f32_16x16x32_fp8_fp8 v[156:159], a[176:177], a[48:49], v[156:159]// 0000000046E0: D3F3009C 1E7261B0
	v_mfma_f32_16x16x32_fp8_fp8 v[156:159], a[178:179], a[50:51], v[156:159]// 0000000046E8: D3F3009C 1E7265B2
	v_mfma_f32_16x16x32_fp8_fp8 v[156:159], a[180:181], a[52:53], v[156:159]// 0000000046F0: D3F3009C 1E7269B4
	v_mfma_f32_16x16x32_fp8_fp8 v[156:159], a[182:183], a[54:55], v[156:159]// 0000000046F8: D3F3009C 1E726DB6
	ds_read_b128 a[128:131], v2 offset:3072                    // 000000004700: DBFE0C00 80000002
	ds_read_b128 a[132:135], v2 offset:3136                    // 000000004708: DBFE0C40 84000002
	v_mfma_f32_16x16x32_fp8_fp8 v[160:163], a[176:177], a[56:57], v[160:163]// 000000004710: D3F300A0 1E8271B0
	v_mfma_f32_16x16x32_fp8_fp8 v[160:163], a[178:179], a[58:59], v[160:163]// 000000004718: D3F300A0 1E8275B2
	v_mfma_f32_16x16x32_fp8_fp8 v[160:163], a[180:181], a[60:61], v[160:163]// 000000004720: D3F300A0 1E8279B4
	v_mfma_f32_16x16x32_fp8_fp8 v[160:163], a[182:183], a[62:63], v[160:163]// 000000004728: D3F300A0 1E827DB6
	ds_read_b128 a[136:139], v2 offset:3584                    // 000000004730: DBFE0E00 88000002
	ds_read_b128 a[140:143], v2 offset:3648                    // 000000004738: DBFE0E40 8C000002
	v_mfma_f32_16x16x32_fp8_fp8 v[164:167], a[176:177], a[64:65], v[164:167]// 000000004740: D3F300A4 1E9281B0
	s_add_u32 s60, 0x180, s80                                  // 000000004748: 803C50FF 00000180
	s_cmp_lt_u32 s60, s81                                      // 000000004750: BF0A513C
	s_cselect_b32 s57, s57, 0                                  // 000000004754: 85398039
	v_mfma_f32_16x16x32_fp8_fp8 v[164:167], a[178:179], a[66:67], v[164:167]// 000000004758: D3F300A4 1E9285B2
	s_add_u32 s60, 0x100, s80                                  // 000000004760: 803C50FF 00000100
	s_cmp_lt_u32 s60, s81                                      // 000000004768: BF0A513C
	s_cselect_b32 s58, s58, 0                                  // 00000000476C: 853A803A
	v_mfma_f32_16x16x32_fp8_fp8 v[164:167], a[180:181], a[68:69], v[164:167]// 000000004770: D3F300A4 1E9289B4
	s_add_u32 s60, 0x100, s80                                  // 000000004778: 803C50FF 00000100
	s_cmp_lt_u32 s60, s81                                      // 000000004780: BF0A513C
	s_cselect_b32 s83, s83, 0                                  // 000000004784: 85538053
	v_mfma_f32_16x16x32_fp8_fp8 v[164:167], a[182:183], a[70:71], v[164:167]// 000000004788: D3F300A4 1E928DB6
	ds_read_b128 a[144:147], v2 offset:4096                    // 000000004790: DBFE1000 90000002
	ds_read_b128 a[148:151], v2 offset:4160                    // 000000004798: DBFE1040 94000002
	s_add_u32 s24, s58, s24                                    // 0000000047A0: 8018183A
	s_addc_u32 s25, 0, s25                                     // 0000000047A4: 82191980
	v_mfma_f32_16x16x32_fp8_fp8 v[168:171], a[176:177], a[72:73], v[168:171]// 0000000047A8: D3F300A8 1EA291B0
	s_add_u32 s20, s57, s20                                    // 0000000047B0: 80141439
	s_addc_u32 s21, 0, s21                                     // 0000000047B4: 82151580
	v_mfma_f32_16x16x32_fp8_fp8 v[168:171], a[178:179], a[74:75], v[168:171]// 0000000047B8: D3F300A8 1EA295B2
	s_add_u32 s84, s83, s84                                    // 0000000047C0: 80545453
	s_addc_u32 s85, 0, s85                                     // 0000000047C4: 82555580
	v_mfma_f32_16x16x32_fp8_fp8 v[168:171], a[180:181], a[76:77], v[168:171]// 0000000047C8: D3F300A8 1EA299B4
	v_mfma_f32_16x16x32_fp8_fp8 v[168:171], a[182:183], a[78:79], v[168:171]// 0000000047D0: D3F300A8 1EA29DB6
	ds_read_b128 a[152:155], v2 offset:4608                    // 0000000047D8: DBFE1200 98000002
	ds_read_b128 a[156:159], v2 offset:4672                    // 0000000047E0: DBFE1240 9C000002
	s_addk_i32 s80, 0x80                                       // 0000000047E8: B7500080
	s_cmp_lt_i32 s80, s81                                      // 0000000047EC: BF045150
	s_cbranch_scc0 label_0B23                                  // 0000000047F0: BF8403A6
	s_waitcnt vmcnt(22) lgkmcnt(0)                             // 0000000047F4: BF8C4076
	v_mfma_f32_16x16x32_fp8_fp8 v[92:95], a[160:161], a[80:81], v[92:95]// 0000000047F8: D3F3005C 1D72A1A0
	v_mfma_f32_16x16x32_fp8_fp8 v[92:95], a[162:163], a[82:83], v[92:95]// 000000004800: D3F3005C 1D72A5A2
	buffer_load_dwordx4 a[176:179], v90, s[24:27], 0 offen     // 000000004808: E05C1000 8086B05A
	v_mfma_f32_16x16x32_fp8_fp8 v[92:95], a[164:165], a[84:85], v[92:95]// 000000004810: D3F3005C 1D72A9A4
	v_mfma_f32_16x16x32_fp8_fp8 v[92:95], a[166:167], a[86:87], v[92:95]// 000000004818: D3F3005C 1D72ADA6
	v_mfma_f32_16x16x32_fp8_fp8 v[96:99], a[160:161], a[88:89], v[96:99]// 000000004820: D3F30060 1D82B1A0
	v_mfma_f32_16x16x32_fp8_fp8 v[96:99], a[162:163], a[90:91], v[96:99]// 000000004828: D3F30060 1D82B5A2
	buffer_load_dwordx4 a[180:183], v90, s[24:27], 0 offen offset:1024// 000000004830: E05C1400 8086B45A
	buffer_load_dword v70, s[20:23], 0 offen lds               // 000000004838: E0511000 80050046
	s_add_u32 m0, 0x100, s50                                   // 000000004840: 807C32FF 00000100
	v_mfma_f32_16x16x32_fp8_fp8 v[96:99], a[164:165], a[92:93], v[96:99]// 000000004848: D3F30060 1D82B9A4
	v_mfma_f32_16x16x32_fp8_fp8 v[96:99], a[166:167], a[94:95], v[96:99]// 000000004850: D3F30060 1D82BDA6
	buffer_load_dword v71, s[20:23], 0 offen lds               // 000000004858: E0511000 80050047
	s_add_u32 m0, 0x200, s50                                   // 000000004860: 807C32FF 00000200
	v_mfma_f32_16x16x32_fp8_fp8 v[100:103], a[160:161], a[96:97], v[100:103]// 000000004868: D3F30064 1D92C1A0
	v_mfma_f32_16x16x32_fp8_fp8 v[100:103], a[162:163], a[98:99], v[100:103]// 000000004870: D3F30064 1D92C5A2
	buffer_load_dword v72, s[20:23], 0 offen lds               // 000000004878: E0511000 80050048
	s_add_u32 m0, 0x300, s50                                   // 000000004880: 807C32FF 00000300
	v_mfma_f32_16x16x32_fp8_fp8 v[100:103], a[164:165], a[100:101], v[100:103]// 000000004888: D3F30064 1D92C9A4
	v_mfma_f32_16x16x32_fp8_fp8 v[100:103], a[166:167], a[102:103], v[100:103]// 000000004890: D3F30064 1D92CDA6
	buffer_load_dword v73, s[20:23], 0 offen lds               // 000000004898: E0511000 80050049
	s_add_u32 m0, 0x400, s50                                   // 0000000048A0: 807C32FF 00000400
	v_mfma_f32_16x16x32_fp8_fp8 v[104:107], a[160:161], a[104:105], v[104:107]// 0000000048A8: D3F30068 1DA2D1A0
	v_mfma_f32_16x16x32_fp8_fp8 v[104:107], a[162:163], a[106:107], v[104:107]// 0000000048B0: D3F30068 1DA2D5A2
	buffer_load_dword v74, s[20:23], 0 offen lds               // 0000000048B8: E0511000 8005004A
	s_add_u32 m0, 0x500, s50                                   // 0000000048C0: 807C32FF 00000500
	v_mfma_f32_16x16x32_fp8_fp8 v[104:107], a[164:165], a[108:109], v[104:107]// 0000000048C8: D3F30068 1DA2D9A4
	v_mfma_f32_16x16x32_fp8_fp8 v[104:107], a[166:167], a[110:111], v[104:107]// 0000000048D0: D3F30068 1DA2DDA6
	buffer_load_dword v75, s[20:23], 0 offen lds               // 0000000048D8: E0511000 8005004B
	s_add_u32 m0, 0x600, s50                                   // 0000000048E0: 807C32FF 00000600
	v_mfma_f32_16x16x32_fp8_fp8 v[108:111], a[160:161], a[112:113], v[108:111]// 0000000048E8: D3F3006C 1DB2E1A0
	v_mfma_f32_16x16x32_fp8_fp8 v[108:111], a[162:163], a[114:115], v[108:111]// 0000000048F0: D3F3006C 1DB2E5A2
	buffer_load_dword v76, s[20:23], 0 offen lds               // 0000000048F8: E0511000 8005004C
	s_add_u32 m0, 0x700, s50                                   // 000000004900: 807C32FF 00000700
	v_mfma_f32_16x16x32_fp8_fp8 v[108:111], a[164:165], a[116:117], v[108:111]// 000000004908: D3F3006C 1DB2E9A4
	v_mfma_f32_16x16x32_fp8_fp8 v[108:111], a[166:167], a[118:119], v[108:111]// 000000004910: D3F3006C 1DB2EDA6
	buffer_load_dword v77, s[20:23], 0 offen lds               // 000000004918: E0511000 8005004D
	s_add_u32 m0, 0x800, s50                                   // 000000004920: 807C32FF 00000800
	v_mfma_f32_16x16x32_fp8_fp8 v[112:115], a[160:161], a[120:121], v[112:115]// 000000004928: D3F30070 1DC2F1A0
	v_mfma_f32_16x16x32_fp8_fp8 v[112:115], a[162:163], a[122:123], v[112:115]// 000000004930: D3F30070 1DC2F5A2
	buffer_load_dword v78, s[20:23], 0 offen lds               // 000000004938: E0511000 8005004E
	s_add_u32 m0, 0x900, s50                                   // 000000004940: 807C32FF 00000900
	v_mfma_f32_16x16x32_fp8_fp8 v[112:115], a[164:165], a[124:125], v[112:115]// 000000004948: D3F30070 1DC2F9A4
	v_mfma_f32_16x16x32_fp8_fp8 v[112:115], a[166:167], a[126:127], v[112:115]// 000000004950: D3F30070 1DC2FDA6
	buffer_load_dword v79, s[20:23], 0 offen lds               // 000000004958: E0511000 8005004F
	s_add_u32 m0, 0xa00, s50                                   // 000000004960: 807C32FF 00000A00
	v_mfma_f32_16x16x32_fp8_fp8 v[116:119], a[160:161], a[128:129], v[116:119]// 000000004968: D3F30074 1DD301A0
	v_mfma_f32_16x16x32_fp8_fp8 v[116:119], a[162:163], a[130:131], v[116:119]// 000000004970: D3F30074 1DD305A2
	buffer_load_dword v80, s[20:23], 0 offen lds               // 000000004978: E0511000 80050050
	s_add_u32 m0, 0xb00, s50                                   // 000000004980: 807C32FF 00000B00
	v_mfma_f32_16x16x32_fp8_fp8 v[116:119], a[164:165], a[132:133], v[116:119]// 000000004988: D3F30074 1DD309A4
	v_mfma_f32_16x16x32_fp8_fp8 v[116:119], a[166:167], a[134:135], v[116:119]// 000000004990: D3F30074 1DD30DA6
	buffer_load_dword v81, s[20:23], 0 offen lds               // 000000004998: E0511000 80050051
	s_add_u32 m0, 0xc00, s50                                   // 0000000049A0: 807C32FF 00000C00
	v_mfma_f32_16x16x32_fp8_fp8 v[120:123], a[160:161], a[136:137], v[120:123]// 0000000049A8: D3F30078 1DE311A0
	v_mfma_f32_16x16x32_fp8_fp8 v[120:123], a[162:163], a[138:139], v[120:123]// 0000000049B0: D3F30078 1DE315A2
	buffer_load_dword v82, s[20:23], 0 offen lds               // 0000000049B8: E0511000 80050052
	s_add_u32 m0, 0xd00, s50                                   // 0000000049C0: 807C32FF 00000D00
	v_mfma_f32_16x16x32_fp8_fp8 v[120:123], a[164:165], a[140:141], v[120:123]// 0000000049C8: D3F30078 1DE319A4
	v_mfma_f32_16x16x32_fp8_fp8 v[120:123], a[166:167], a[142:143], v[120:123]// 0000000049D0: D3F30078 1DE31DA6
	buffer_load_dword v83, s[20:23], 0 offen lds               // 0000000049D8: E0511000 80050053
	s_add_u32 m0, 0xe00, s50                                   // 0000000049E0: 807C32FF 00000E00
	v_mfma_f32_16x16x32_fp8_fp8 v[124:127], a[160:161], a[144:145], v[124:127]// 0000000049E8: D3F3007C 1DF321A0
	v_mfma_f32_16x16x32_fp8_fp8 v[124:127], a[162:163], a[146:147], v[124:127]// 0000000049F0: D3F3007C 1DF325A2
	buffer_load_dword v84, s[20:23], 0 offen lds               // 0000000049F8: E0511000 80050054
	s_add_u32 m0, 0xf00, s50                                   // 000000004A00: 807C32FF 00000F00
	v_mfma_f32_16x16x32_fp8_fp8 v[124:127], a[164:165], a[148:149], v[124:127]// 000000004A08: D3F3007C 1DF329A4
	v_mfma_f32_16x16x32_fp8_fp8 v[124:127], a[166:167], a[150:151], v[124:127]// 000000004A10: D3F3007C 1DF32DA6
	buffer_load_dword v85, s[20:23], 0 offen lds               // 000000004A18: E0511000 80050055
	s_add_u32 m0, 0x1000, s50                                  // 000000004A20: 807C32FF 00001000
	v_mfma_f32_16x16x32_fp8_fp8 v[128:131], a[160:161], a[152:153], v[128:131]// 000000004A28: D3F30080 1E0331A0
	v_mfma_f32_16x16x32_fp8_fp8 v[128:131], a[162:163], a[154:155], v[128:131]// 000000004A30: D3F30080 1E0335A2
	buffer_load_dword v86, s[20:23], 0 offen lds               // 000000004A38: E0511000 80050056
	s_add_u32 m0, 0x1100, s50                                  // 000000004A40: 807C32FF 00001100
	v_mfma_f32_16x16x32_fp8_fp8 v[128:131], a[164:165], a[156:157], v[128:131]// 000000004A48: D3F30080 1E0339A4
	v_mfma_f32_16x16x32_fp8_fp8 v[128:131], a[166:167], a[158:159], v[128:131]// 000000004A50: D3F30080 1E033DA6
	buffer_load_dword v87, s[20:23], 0 offen lds               // 000000004A58: E0511000 80050057
	s_add_u32 m0, 0x1200, s50                                  // 000000004A60: 807C32FF 00001200
	buffer_load_dword v88, s[20:23], 0 offen lds               // 000000004A68: E0511000 80050058
	s_add_u32 m0, 0x1300, s50                                  // 000000004A70: 807C32FF 00001300
	buffer_load_dword v89, s[20:23], 0 offen lds               // 000000004A78: E0511000 80050059
	s_add_u32 m0, 0, s48                                       // 000000004A80: 807C3080
	s_waitcnt vmcnt(22)                                        // 000000004A84: BF8C4F76
	s_barrier                                                  // 000000004A88: BF8A0000
	v_mfma_f32_16x16x32_fp8_fp8 v[132:135], a[168:169], a[80:81], v[132:135]// 000000004A8C: D3F30084 1E12A1A8
	v_mfma_f32_16x16x32_fp8_fp8 v[132:135], a[170:171], a[82:83], v[132:135]// 000000004A94: D3F30084 1E12A5AA
	buffer_load_dwordx4 a[160:163], v90, s[84:87], 0 offen     // 000000004A9C: E05C1000 8095A05A
	v_mfma_f32_16x16x32_fp8_fp8 v[132:135], a[172:173], a[84:85], v[132:135]// 000000004AA4: D3F30084 1E12A9AC
	v_mfma_f32_16x16x32_fp8_fp8 v[132:135], a[174:175], a[86:87], v[132:135]// 000000004AAC: D3F30084 1E12ADAE
	ds_read_b128 a[0:3], v2 offset:20608                       // 000000004AB4: DBFE5080 00000002
	ds_read_b128 a[4:7], v2 offset:20672                       // 000000004ABC: DBFE50C0 04000002
	v_mfma_f32_16x16x32_fp8_fp8 v[136:139], a[168:169], a[88:89], v[136:139]// 000000004AC4: D3F30088 1E22B1A8
	v_mfma_f32_16x16x32_fp8_fp8 v[136:139], a[170:171], a[90:91], v[136:139]// 000000004ACC: D3F30088 1E22B5AA
	buffer_load_dwordx4 a[164:167], v90, s[84:87], 0 offen offset:1024// 000000004AD4: E05C1400 8095A45A
	v_mfma_f32_16x16x32_fp8_fp8 v[136:139], a[172:173], a[92:93], v[136:139]// 000000004ADC: D3F30088 1E22B9AC
	v_mfma_f32_16x16x32_fp8_fp8 v[136:139], a[174:175], a[94:95], v[136:139]// 000000004AE4: D3F30088 1E22BDAE
	ds_read_b128 a[8:11], v2 offset:21120                      // 000000004AEC: DBFE5280 08000002
	ds_read_b128 a[12:15], v2 offset:21184                     // 000000004AF4: DBFE52C0 0C000002
	v_mfma_f32_16x16x32_fp8_fp8 v[140:143], a[168:169], a[96:97], v[140:143]// 000000004AFC: D3F3008C 1E32C1A8
	v_mfma_f32_16x16x32_fp8_fp8 v[140:143], a[170:171], a[98:99], v[140:143]// 000000004B04: D3F3008C 1E32C5AA
	v_mfma_f32_16x16x32_fp8_fp8 v[140:143], a[172:173], a[100:101], v[140:143]// 000000004B0C: D3F3008C 1E32C9AC
	v_mfma_f32_16x16x32_fp8_fp8 v[140:143], a[174:175], a[102:103], v[140:143]// 000000004B14: D3F3008C 1E32CDAE
	ds_read_b128 a[16:19], v2 offset:21632                     // 000000004B1C: DBFE5480 10000002
	ds_read_b128 a[20:23], v2 offset:21696                     // 000000004B24: DBFE54C0 14000002
	v_mfma_f32_16x16x32_fp8_fp8 v[144:147], a[168:169], a[104:105], v[144:147]// 000000004B2C: D3F30090 1E42D1A8
	v_mfma_f32_16x16x32_fp8_fp8 v[144:147], a[170:171], a[106:107], v[144:147]// 000000004B34: D3F30090 1E42D5AA
	v_mfma_f32_16x16x32_fp8_fp8 v[144:147], a[172:173], a[108:109], v[144:147]// 000000004B3C: D3F30090 1E42D9AC
	v_mfma_f32_16x16x32_fp8_fp8 v[144:147], a[174:175], a[110:111], v[144:147]// 000000004B44: D3F30090 1E42DDAE
	ds_read_b128 a[24:27], v2 offset:22144                     // 000000004B4C: DBFE5680 18000002
	ds_read_b128 a[28:31], v2 offset:22208                     // 000000004B54: DBFE56C0 1C000002
	v_mfma_f32_16x16x32_fp8_fp8 v[148:151], a[168:169], a[112:113], v[148:151]// 000000004B5C: D3F30094 1E52E1A8
	v_mfma_f32_16x16x32_fp8_fp8 v[148:151], a[170:171], a[114:115], v[148:151]// 000000004B64: D3F30094 1E52E5AA
	v_mfma_f32_16x16x32_fp8_fp8 v[148:151], a[172:173], a[116:117], v[148:151]// 000000004B6C: D3F30094 1E52E9AC
	v_mfma_f32_16x16x32_fp8_fp8 v[148:151], a[174:175], a[118:119], v[148:151]// 000000004B74: D3F30094 1E52EDAE
	ds_read_b128 a[32:35], v2 offset:22656                     // 000000004B7C: DBFE5880 20000002
	ds_read_b128 a[36:39], v2 offset:22720                     // 000000004B84: DBFE58C0 24000002
	v_mfma_f32_16x16x32_fp8_fp8 v[152:155], a[168:169], a[120:121], v[152:155]// 000000004B8C: D3F30098 1E62F1A8
	v_mfma_f32_16x16x32_fp8_fp8 v[152:155], a[170:171], a[122:123], v[152:155]// 000000004B94: D3F30098 1E62F5AA
	v_mfma_f32_16x16x32_fp8_fp8 v[152:155], a[172:173], a[124:125], v[152:155]// 000000004B9C: D3F30098 1E62F9AC
	v_mfma_f32_16x16x32_fp8_fp8 v[152:155], a[174:175], a[126:127], v[152:155]// 000000004BA4: D3F30098 1E62FDAE
	ds_read_b128 a[40:43], v2 offset:23168                     // 000000004BAC: DBFE5A80 28000002
	ds_read_b128 a[44:47], v2 offset:23232                     // 000000004BB4: DBFE5AC0 2C000002
	v_mfma_f32_16x16x32_fp8_fp8 v[156:159], a[168:169], a[128:129], v[156:159]// 000000004BBC: D3F3009C 1E7301A8
	v_mfma_f32_16x16x32_fp8_fp8 v[156:159], a[170:171], a[130:131], v[156:159]// 000000004BC4: D3F3009C 1E7305AA
	v_mfma_f32_16x16x32_fp8_fp8 v[156:159], a[172:173], a[132:133], v[156:159]// 000000004BCC: D3F3009C 1E7309AC
	v_mfma_f32_16x16x32_fp8_fp8 v[156:159], a[174:175], a[134:135], v[156:159]// 000000004BD4: D3F3009C 1E730DAE
	ds_read_b128 a[48:51], v2 offset:23680                     // 000000004BDC: DBFE5C80 30000002
	ds_read_b128 a[52:55], v2 offset:23744                     // 000000004BE4: DBFE5CC0 34000002
	v_mfma_f32_16x16x32_fp8_fp8 v[160:163], a[168:169], a[136:137], v[160:163]// 000000004BEC: D3F300A0 1E8311A8
	v_mfma_f32_16x16x32_fp8_fp8 v[160:163], a[170:171], a[138:139], v[160:163]// 000000004BF4: D3F300A0 1E8315AA
	v_mfma_f32_16x16x32_fp8_fp8 v[160:163], a[172:173], a[140:141], v[160:163]// 000000004BFC: D3F300A0 1E8319AC
	v_mfma_f32_16x16x32_fp8_fp8 v[160:163], a[174:175], a[142:143], v[160:163]// 000000004C04: D3F300A0 1E831DAE
	ds_read_b128 a[56:59], v2 offset:24192                     // 000000004C0C: DBFE5E80 38000002
	ds_read_b128 a[60:63], v2 offset:24256                     // 000000004C14: DBFE5EC0 3C000002
	v_mfma_f32_16x16x32_fp8_fp8 v[164:167], a[168:169], a[144:145], v[164:167]// 000000004C1C: D3F300A4 1E9321A8
	s_add_u32 s60, 0x180, s80                                  // 000000004C24: 803C50FF 00000180
	s_cmp_lt_u32 s60, s81                                      // 000000004C2C: BF0A513C
	s_cselect_b32 s57, s57, 0                                  // 000000004C30: 85398039
	v_mfma_f32_16x16x32_fp8_fp8 v[164:167], a[170:171], a[146:147], v[164:167]// 000000004C34: D3F300A4 1E9325AA
	s_add_u32 s60, 0x100, s80                                  // 000000004C3C: 803C50FF 00000100
	s_cmp_lt_u32 s60, s81                                      // 000000004C44: BF0A513C
	s_cselect_b32 s58, s58, 0                                  // 000000004C48: 853A803A
	v_mfma_f32_16x16x32_fp8_fp8 v[164:167], a[172:173], a[148:149], v[164:167]// 000000004C4C: D3F300A4 1E9329AC
	s_add_u32 s60, 0x100, s80                                  // 000000004C54: 803C50FF 00000100
	s_cmp_lt_u32 s60, s81                                      // 000000004C5C: BF0A513C
	s_cselect_b32 s83, s83, 0                                  // 000000004C60: 85538053
	v_mfma_f32_16x16x32_fp8_fp8 v[164:167], a[174:175], a[150:151], v[164:167]// 000000004C64: D3F300A4 1E932DAE
	ds_read_b128 a[64:67], v2 offset:24704                     // 000000004C6C: DBFE6080 40000002
	ds_read_b128 a[68:71], v2 offset:24768                     // 000000004C74: DBFE60C0 44000002
	s_add_u32 s24, s58, s24                                    // 000000004C7C: 8018183A
	s_addc_u32 s25, 0, s25                                     // 000000004C80: 82191980
	v_mfma_f32_16x16x32_fp8_fp8 v[168:171], a[168:169], a[152:153], v[168:171]// 000000004C84: D3F300A8 1EA331A8
	s_add_u32 s20, s57, s20                                    // 000000004C8C: 80141439
	s_addc_u32 s21, 0, s21                                     // 000000004C90: 82151580
	v_mfma_f32_16x16x32_fp8_fp8 v[168:171], a[170:171], a[154:155], v[168:171]// 000000004C94: D3F300A8 1EA335AA
	s_add_u32 s84, s83, s84                                    // 000000004C9C: 80545453
	s_addc_u32 s85, 0, s85                                     // 000000004CA0: 82555580
	v_mfma_f32_16x16x32_fp8_fp8 v[168:171], a[172:173], a[156:157], v[168:171]// 000000004CA4: D3F300A8 1EA339AC
	v_mfma_f32_16x16x32_fp8_fp8 v[168:171], a[174:175], a[158:159], v[168:171]// 000000004CAC: D3F300A8 1EA33DAE
	ds_read_b128 a[72:75], v2 offset:25216                     // 000000004CB4: DBFE6280 48000002
	ds_read_b128 a[76:79], v2 offset:25280                     // 000000004CBC: DBFE62C0 4C000002
	s_addk_i32 s80, 0x80                                       // 000000004CC4: B7500080
	s_cmp_lt_i32 s80, s81                                      // 000000004CC8: BF045150
	s_cbranch_scc0 label_0B23                                  // 000000004CCC: BF84026F
	s_waitcnt vmcnt(22) lgkmcnt(0)                             // 000000004CD0: BF8C4076
	v_mfma_f32_16x16x32_fp8_fp8 v[92:95], a[176:177], a[0:1], v[92:95]// 000000004CD4: D3F3005C 1D7201B0
	v_mfma_f32_16x16x32_fp8_fp8 v[92:95], a[178:179], a[2:3], v[92:95]// 000000004CDC: D3F3005C 1D7205B2
	buffer_load_dwordx4 a[168:171], v90, s[24:27], 0 offen     // 000000004CE4: E05C1000 8086A85A
	v_mfma_f32_16x16x32_fp8_fp8 v[92:95], a[180:181], a[4:5], v[92:95]// 000000004CEC: D3F3005C 1D7209B4
	v_mfma_f32_16x16x32_fp8_fp8 v[92:95], a[182:183], a[6:7], v[92:95]// 000000004CF4: D3F3005C 1D720DB6
	v_mfma_f32_16x16x32_fp8_fp8 v[96:99], a[176:177], a[8:9], v[96:99]// 000000004CFC: D3F30060 1D8211B0
	v_mfma_f32_16x16x32_fp8_fp8 v[96:99], a[178:179], a[10:11], v[96:99]// 000000004D04: D3F30060 1D8215B2
	buffer_load_dwordx4 a[172:175], v90, s[24:27], 0 offen offset:1024// 000000004D0C: E05C1400 8086AC5A
	buffer_load_dword v70, s[20:23], 0 offen lds               // 000000004D14: E0511000 80050046
	s_add_u32 m0, 0x100, s48                                   // 000000004D1C: 807C30FF 00000100
	v_mfma_f32_16x16x32_fp8_fp8 v[96:99], a[180:181], a[12:13], v[96:99]// 000000004D24: D3F30060 1D8219B4
	v_mfma_f32_16x16x32_fp8_fp8 v[96:99], a[182:183], a[14:15], v[96:99]// 000000004D2C: D3F30060 1D821DB6
	buffer_load_dword v71, s[20:23], 0 offen lds               // 000000004D34: E0511000 80050047
	s_add_u32 m0, 0x200, s48                                   // 000000004D3C: 807C30FF 00000200
	v_mfma_f32_16x16x32_fp8_fp8 v[100:103], a[176:177], a[16:17], v[100:103]// 000000004D44: D3F30064 1D9221B0
	v_mfma_f32_16x16x32_fp8_fp8 v[100:103], a[178:179], a[18:19], v[100:103]// 000000004D4C: D3F30064 1D9225B2
	buffer_load_dword v72, s[20:23], 0 offen lds               // 000000004D54: E0511000 80050048
	s_add_u32 m0, 0x300, s48                                   // 000000004D5C: 807C30FF 00000300
	v_mfma_f32_16x16x32_fp8_fp8 v[100:103], a[180:181], a[20:21], v[100:103]// 000000004D64: D3F30064 1D9229B4
	v_mfma_f32_16x16x32_fp8_fp8 v[100:103], a[182:183], a[22:23], v[100:103]// 000000004D6C: D3F30064 1D922DB6
	buffer_load_dword v73, s[20:23], 0 offen lds               // 000000004D74: E0511000 80050049
	s_add_u32 m0, 0x400, s48                                   // 000000004D7C: 807C30FF 00000400
	v_mfma_f32_16x16x32_fp8_fp8 v[104:107], a[176:177], a[24:25], v[104:107]// 000000004D84: D3F30068 1DA231B0
	v_mfma_f32_16x16x32_fp8_fp8 v[104:107], a[178:179], a[26:27], v[104:107]// 000000004D8C: D3F30068 1DA235B2
	buffer_load_dword v74, s[20:23], 0 offen lds               // 000000004D94: E0511000 8005004A
	s_add_u32 m0, 0x500, s48                                   // 000000004D9C: 807C30FF 00000500
	v_mfma_f32_16x16x32_fp8_fp8 v[104:107], a[180:181], a[28:29], v[104:107]// 000000004DA4: D3F30068 1DA239B4
	v_mfma_f32_16x16x32_fp8_fp8 v[104:107], a[182:183], a[30:31], v[104:107]// 000000004DAC: D3F30068 1DA23DB6
	buffer_load_dword v75, s[20:23], 0 offen lds               // 000000004DB4: E0511000 8005004B
	s_add_u32 m0, 0x600, s48                                   // 000000004DBC: 807C30FF 00000600
	v_mfma_f32_16x16x32_fp8_fp8 v[108:111], a[176:177], a[32:33], v[108:111]// 000000004DC4: D3F3006C 1DB241B0
	v_mfma_f32_16x16x32_fp8_fp8 v[108:111], a[178:179], a[34:35], v[108:111]// 000000004DCC: D3F3006C 1DB245B2
	buffer_load_dword v76, s[20:23], 0 offen lds               // 000000004DD4: E0511000 8005004C
	s_add_u32 m0, 0x700, s48                                   // 000000004DDC: 807C30FF 00000700
	v_mfma_f32_16x16x32_fp8_fp8 v[108:111], a[180:181], a[36:37], v[108:111]// 000000004DE4: D3F3006C 1DB249B4
	v_mfma_f32_16x16x32_fp8_fp8 v[108:111], a[182:183], a[38:39], v[108:111]// 000000004DEC: D3F3006C 1DB24DB6
	buffer_load_dword v77, s[20:23], 0 offen lds               // 000000004DF4: E0511000 8005004D
	s_add_u32 m0, 0x800, s48                                   // 000000004DFC: 807C30FF 00000800
	v_mfma_f32_16x16x32_fp8_fp8 v[112:115], a[176:177], a[40:41], v[112:115]// 000000004E04: D3F30070 1DC251B0
	v_mfma_f32_16x16x32_fp8_fp8 v[112:115], a[178:179], a[42:43], v[112:115]// 000000004E0C: D3F30070 1DC255B2
	buffer_load_dword v78, s[20:23], 0 offen lds               // 000000004E14: E0511000 8005004E
	s_add_u32 m0, 0x900, s48                                   // 000000004E1C: 807C30FF 00000900
	v_mfma_f32_16x16x32_fp8_fp8 v[112:115], a[180:181], a[44:45], v[112:115]// 000000004E24: D3F30070 1DC259B4
	v_mfma_f32_16x16x32_fp8_fp8 v[112:115], a[182:183], a[46:47], v[112:115]// 000000004E2C: D3F30070 1DC25DB6
	buffer_load_dword v79, s[20:23], 0 offen lds               // 000000004E34: E0511000 8005004F
	s_add_u32 m0, 0xa00, s48                                   // 000000004E3C: 807C30FF 00000A00
	v_mfma_f32_16x16x32_fp8_fp8 v[116:119], a[176:177], a[48:49], v[116:119]// 000000004E44: D3F30074 1DD261B0
	v_mfma_f32_16x16x32_fp8_fp8 v[116:119], a[178:179], a[50:51], v[116:119]// 000000004E4C: D3F30074 1DD265B2
	buffer_load_dword v80, s[20:23], 0 offen lds               // 000000004E54: E0511000 80050050
	s_add_u32 m0, 0xb00, s48                                   // 000000004E5C: 807C30FF 00000B00
	v_mfma_f32_16x16x32_fp8_fp8 v[116:119], a[180:181], a[52:53], v[116:119]// 000000004E64: D3F30074 1DD269B4
	v_mfma_f32_16x16x32_fp8_fp8 v[116:119], a[182:183], a[54:55], v[116:119]// 000000004E6C: D3F30074 1DD26DB6
	buffer_load_dword v81, s[20:23], 0 offen lds               // 000000004E74: E0511000 80050051
	s_add_u32 m0, 0xc00, s48                                   // 000000004E7C: 807C30FF 00000C00
	v_mfma_f32_16x16x32_fp8_fp8 v[120:123], a[176:177], a[56:57], v[120:123]// 000000004E84: D3F30078 1DE271B0
	v_mfma_f32_16x16x32_fp8_fp8 v[120:123], a[178:179], a[58:59], v[120:123]// 000000004E8C: D3F30078 1DE275B2
	buffer_load_dword v82, s[20:23], 0 offen lds               // 000000004E94: E0511000 80050052
	s_add_u32 m0, 0xd00, s48                                   // 000000004E9C: 807C30FF 00000D00
	v_mfma_f32_16x16x32_fp8_fp8 v[120:123], a[180:181], a[60:61], v[120:123]// 000000004EA4: D3F30078 1DE279B4
	v_mfma_f32_16x16x32_fp8_fp8 v[120:123], a[182:183], a[62:63], v[120:123]// 000000004EAC: D3F30078 1DE27DB6
	buffer_load_dword v83, s[20:23], 0 offen lds               // 000000004EB4: E0511000 80050053
	s_add_u32 m0, 0xe00, s48                                   // 000000004EBC: 807C30FF 00000E00
	v_mfma_f32_16x16x32_fp8_fp8 v[124:127], a[176:177], a[64:65], v[124:127]// 000000004EC4: D3F3007C 1DF281B0
	v_mfma_f32_16x16x32_fp8_fp8 v[124:127], a[178:179], a[66:67], v[124:127]// 000000004ECC: D3F3007C 1DF285B2
	buffer_load_dword v84, s[20:23], 0 offen lds               // 000000004ED4: E0511000 80050054
	s_add_u32 m0, 0xf00, s48                                   // 000000004EDC: 807C30FF 00000F00
	v_mfma_f32_16x16x32_fp8_fp8 v[124:127], a[180:181], a[68:69], v[124:127]// 000000004EE4: D3F3007C 1DF289B4
	v_mfma_f32_16x16x32_fp8_fp8 v[124:127], a[182:183], a[70:71], v[124:127]// 000000004EEC: D3F3007C 1DF28DB6
	buffer_load_dword v85, s[20:23], 0 offen lds               // 000000004EF4: E0511000 80050055
	s_add_u32 m0, 0x1000, s48                                  // 000000004EFC: 807C30FF 00001000
	v_mfma_f32_16x16x32_fp8_fp8 v[128:131], a[176:177], a[72:73], v[128:131]// 000000004F04: D3F30080 1E0291B0
	v_mfma_f32_16x16x32_fp8_fp8 v[128:131], a[178:179], a[74:75], v[128:131]// 000000004F0C: D3F30080 1E0295B2
	buffer_load_dword v86, s[20:23], 0 offen lds               // 000000004F14: E0511000 80050056
	s_add_u32 m0, 0x1100, s48                                  // 000000004F1C: 807C30FF 00001100
	v_mfma_f32_16x16x32_fp8_fp8 v[128:131], a[180:181], a[76:77], v[128:131]// 000000004F24: D3F30080 1E0299B4
	v_mfma_f32_16x16x32_fp8_fp8 v[128:131], a[182:183], a[78:79], v[128:131]// 000000004F2C: D3F30080 1E029DB6
	buffer_load_dword v87, s[20:23], 0 offen lds               // 000000004F34: E0511000 80050057
	s_add_u32 m0, 0x1200, s48                                  // 000000004F3C: 807C30FF 00001200
	buffer_load_dword v88, s[20:23], 0 offen lds               // 000000004F44: E0511000 80050058
	s_add_u32 m0, 0x1300, s48                                  // 000000004F4C: 807C30FF 00001300
	buffer_load_dword v89, s[20:23], 0 offen lds               // 000000004F54: E0511000 80050059
	s_add_u32 m0, 0, s49                                       // 000000004F5C: 807C3180
	s_waitcnt vmcnt(22)                                        // 000000004F60: BF8C4F76
	s_barrier                                                  // 000000004F64: BF8A0000
	v_mfma_f32_16x16x32_fp8_fp8 v[132:135], a[160:161], a[0:1], v[132:135]// 000000004F68: D3F30084 1E1201A0
	v_mfma_f32_16x16x32_fp8_fp8 v[132:135], a[162:163], a[2:3], v[132:135]// 000000004F70: D3F30084 1E1205A2
	buffer_load_dwordx4 a[176:179], v90, s[84:87], 0 offen     // 000000004F78: E05C1000 8095B05A
	v_mfma_f32_16x16x32_fp8_fp8 v[132:135], a[164:165], a[4:5], v[132:135]// 000000004F80: D3F30084 1E1209A4
	v_mfma_f32_16x16x32_fp8_fp8 v[132:135], a[166:167], a[6:7], v[132:135]// 000000004F88: D3F30084 1E120DA6
	ds_read_b128 a[80:83], v2 offset:41216                     // 000000004F90: DBFEA100 50000002
	ds_read_b128 a[84:87], v2 offset:41280                     // 000000004F98: DBFEA140 54000002
	v_mfma_f32_16x16x32_fp8_fp8 v[136:139], a[160:161], a[8:9], v[136:139]// 000000004FA0: D3F30088 1E2211A0
	v_mfma_f32_16x16x32_fp8_fp8 v[136:139], a[162:163], a[10:11], v[136:139]// 000000004FA8: D3F30088 1E2215A2
	buffer_load_dwordx4 a[180:183], v90, s[84:87], 0 offen offset:1024// 000000004FB0: E05C1400 8095B45A
	v_mfma_f32_16x16x32_fp8_fp8 v[136:139], a[164:165], a[12:13], v[136:139]// 000000004FB8: D3F30088 1E2219A4
	v_mfma_f32_16x16x32_fp8_fp8 v[136:139], a[166:167], a[14:15], v[136:139]// 000000004FC0: D3F30088 1E221DA6
	ds_read_b128 a[88:91], v2 offset:41728                     // 000000004FC8: DBFEA300 58000002
	ds_read_b128 a[92:95], v2 offset:41792                     // 000000004FD0: DBFEA340 5C000002
	v_mfma_f32_16x16x32_fp8_fp8 v[140:143], a[160:161], a[16:17], v[140:143]// 000000004FD8: D3F3008C 1E3221A0
	v_mfma_f32_16x16x32_fp8_fp8 v[140:143], a[162:163], a[18:19], v[140:143]// 000000004FE0: D3F3008C 1E3225A2
	v_mfma_f32_16x16x32_fp8_fp8 v[140:143], a[164:165], a[20:21], v[140:143]// 000000004FE8: D3F3008C 1E3229A4
	v_mfma_f32_16x16x32_fp8_fp8 v[140:143], a[166:167], a[22:23], v[140:143]// 000000004FF0: D3F3008C 1E322DA6
	ds_read_b128 a[96:99], v2 offset:42240                     // 000000004FF8: DBFEA500 60000002
	ds_read_b128 a[100:103], v2 offset:42304                   // 000000005000: DBFEA540 64000002
	v_mfma_f32_16x16x32_fp8_fp8 v[144:147], a[160:161], a[24:25], v[144:147]// 000000005008: D3F30090 1E4231A0
	v_mfma_f32_16x16x32_fp8_fp8 v[144:147], a[162:163], a[26:27], v[144:147]// 000000005010: D3F30090 1E4235A2
	v_mfma_f32_16x16x32_fp8_fp8 v[144:147], a[164:165], a[28:29], v[144:147]// 000000005018: D3F30090 1E4239A4
	v_mfma_f32_16x16x32_fp8_fp8 v[144:147], a[166:167], a[30:31], v[144:147]// 000000005020: D3F30090 1E423DA6
	ds_read_b128 a[104:107], v2 offset:42752                   // 000000005028: DBFEA700 68000002
	ds_read_b128 a[108:111], v2 offset:42816                   // 000000005030: DBFEA740 6C000002
	v_mfma_f32_16x16x32_fp8_fp8 v[148:151], a[160:161], a[32:33], v[148:151]// 000000005038: D3F30094 1E5241A0
	v_mfma_f32_16x16x32_fp8_fp8 v[148:151], a[162:163], a[34:35], v[148:151]// 000000005040: D3F30094 1E5245A2
	v_mfma_f32_16x16x32_fp8_fp8 v[148:151], a[164:165], a[36:37], v[148:151]// 000000005048: D3F30094 1E5249A4
	v_mfma_f32_16x16x32_fp8_fp8 v[148:151], a[166:167], a[38:39], v[148:151]// 000000005050: D3F30094 1E524DA6
	ds_read_b128 a[112:115], v2 offset:43264                   // 000000005058: DBFEA900 70000002
	ds_read_b128 a[116:119], v2 offset:43328                   // 000000005060: DBFEA940 74000002
	v_mfma_f32_16x16x32_fp8_fp8 v[152:155], a[160:161], a[40:41], v[152:155]// 000000005068: D3F30098 1E6251A0
	v_mfma_f32_16x16x32_fp8_fp8 v[152:155], a[162:163], a[42:43], v[152:155]// 000000005070: D3F30098 1E6255A2
	v_mfma_f32_16x16x32_fp8_fp8 v[152:155], a[164:165], a[44:45], v[152:155]// 000000005078: D3F30098 1E6259A4
	v_mfma_f32_16x16x32_fp8_fp8 v[152:155], a[166:167], a[46:47], v[152:155]// 000000005080: D3F30098 1E625DA6
	ds_read_b128 a[120:123], v2 offset:43776                   // 000000005088: DBFEAB00 78000002
	ds_read_b128 a[124:127], v2 offset:43840                   // 000000005090: DBFEAB40 7C000002
	v_mfma_f32_16x16x32_fp8_fp8 v[156:159], a[160:161], a[48:49], v[156:159]// 000000005098: D3F3009C 1E7261A0
	v_mfma_f32_16x16x32_fp8_fp8 v[156:159], a[162:163], a[50:51], v[156:159]// 0000000050A0: D3F3009C 1E7265A2
	v_mfma_f32_16x16x32_fp8_fp8 v[156:159], a[164:165], a[52:53], v[156:159]// 0000000050A8: D3F3009C 1E7269A4
	v_mfma_f32_16x16x32_fp8_fp8 v[156:159], a[166:167], a[54:55], v[156:159]// 0000000050B0: D3F3009C 1E726DA6
	ds_read_b128 a[128:131], v2 offset:44288                   // 0000000050B8: DBFEAD00 80000002
	ds_read_b128 a[132:135], v2 offset:44352                   // 0000000050C0: DBFEAD40 84000002
	v_mfma_f32_16x16x32_fp8_fp8 v[160:163], a[160:161], a[56:57], v[160:163]// 0000000050C8: D3F300A0 1E8271A0
	v_mfma_f32_16x16x32_fp8_fp8 v[160:163], a[162:163], a[58:59], v[160:163]// 0000000050D0: D3F300A0 1E8275A2
	v_mfma_f32_16x16x32_fp8_fp8 v[160:163], a[164:165], a[60:61], v[160:163]// 0000000050D8: D3F300A0 1E8279A4
	v_mfma_f32_16x16x32_fp8_fp8 v[160:163], a[166:167], a[62:63], v[160:163]// 0000000050E0: D3F300A0 1E827DA6
	ds_read_b128 a[136:139], v2 offset:44800                   // 0000000050E8: DBFEAF00 88000002
	ds_read_b128 a[140:143], v2 offset:44864                   // 0000000050F0: DBFEAF40 8C000002
	v_mfma_f32_16x16x32_fp8_fp8 v[164:167], a[160:161], a[64:65], v[164:167]// 0000000050F8: D3F300A4 1E9281A0
	s_add_u32 s60, 0x180, s80                                  // 000000005100: 803C50FF 00000180
	s_cmp_lt_u32 s60, s81                                      // 000000005108: BF0A513C
	s_cselect_b32 s57, s57, 0                                  // 00000000510C: 85398039
	v_mfma_f32_16x16x32_fp8_fp8 v[164:167], a[162:163], a[66:67], v[164:167]// 000000005110: D3F300A4 1E9285A2
	s_add_u32 s60, 0x100, s80                                  // 000000005118: 803C50FF 00000100
	s_cmp_lt_u32 s60, s81                                      // 000000005120: BF0A513C
	s_cselect_b32 s58, s58, 0                                  // 000000005124: 853A803A
	v_mfma_f32_16x16x32_fp8_fp8 v[164:167], a[164:165], a[68:69], v[164:167]// 000000005128: D3F300A4 1E9289A4
	s_add_u32 s60, 0x100, s80                                  // 000000005130: 803C50FF 00000100
	s_cmp_lt_u32 s60, s81                                      // 000000005138: BF0A513C
	s_cselect_b32 s83, s83, 0                                  // 00000000513C: 85538053
	v_mfma_f32_16x16x32_fp8_fp8 v[164:167], a[166:167], a[70:71], v[164:167]// 000000005140: D3F300A4 1E928DA6
	ds_read_b128 a[144:147], v2 offset:45312                   // 000000005148: DBFEB100 90000002
	ds_read_b128 a[148:151], v2 offset:45376                   // 000000005150: DBFEB140 94000002
	s_add_u32 s24, s58, s24                                    // 000000005158: 8018183A
	s_addc_u32 s25, 0, s25                                     // 00000000515C: 82191980
	v_mfma_f32_16x16x32_fp8_fp8 v[168:171], a[160:161], a[72:73], v[168:171]// 000000005160: D3F300A8 1EA291A0
	s_add_u32 s20, s57, s20                                    // 000000005168: 80141439
	s_addc_u32 s21, 0, s21                                     // 00000000516C: 82151580
	v_mfma_f32_16x16x32_fp8_fp8 v[168:171], a[162:163], a[74:75], v[168:171]// 000000005170: D3F300A8 1EA295A2
	s_add_u32 s84, s83, s84                                    // 000000005178: 80545453
	s_addc_u32 s85, 0, s85                                     // 00000000517C: 82555580
	v_mfma_f32_16x16x32_fp8_fp8 v[168:171], a[164:165], a[76:77], v[168:171]// 000000005180: D3F300A8 1EA299A4
	v_mfma_f32_16x16x32_fp8_fp8 v[168:171], a[166:167], a[78:79], v[168:171]// 000000005188: D3F300A8 1EA29DA6
	ds_read_b128 a[152:155], v2 offset:45824                   // 000000005190: DBFEB300 98000002
	ds_read_b128 a[156:159], v2 offset:45888                   // 000000005198: DBFEB340 9C000002
	s_addk_i32 s80, 0x80                                       // 0000000051A0: B7500080
	s_cmp_lt_i32 s80, s81                                      // 0000000051A4: BF045150
	s_cbranch_scc0 label_0B23                                  // 0000000051A8: BF840138
	s_waitcnt vmcnt(22) lgkmcnt(0)                             // 0000000051AC: BF8C4076
	v_mfma_f32_16x16x32_fp8_fp8 v[92:95], a[168:169], a[80:81], v[92:95]// 0000000051B0: D3F3005C 1D72A1A8
	v_mfma_f32_16x16x32_fp8_fp8 v[92:95], a[170:171], a[82:83], v[92:95]// 0000000051B8: D3F3005C 1D72A5AA
	buffer_load_dwordx4 a[160:163], v90, s[24:27], 0 offen     // 0000000051C0: E05C1000 8086A05A
	v_mfma_f32_16x16x32_fp8_fp8 v[92:95], a[172:173], a[84:85], v[92:95]// 0000000051C8: D3F3005C 1D72A9AC
	v_mfma_f32_16x16x32_fp8_fp8 v[92:95], a[174:175], a[86:87], v[92:95]// 0000000051D0: D3F3005C 1D72ADAE
	v_mfma_f32_16x16x32_fp8_fp8 v[96:99], a[168:169], a[88:89], v[96:99]// 0000000051D8: D3F30060 1D82B1A8
	v_mfma_f32_16x16x32_fp8_fp8 v[96:99], a[170:171], a[90:91], v[96:99]// 0000000051E0: D3F30060 1D82B5AA
	buffer_load_dwordx4 a[164:167], v90, s[24:27], 0 offen offset:1024// 0000000051E8: E05C1400 8086A45A
	buffer_load_dword v70, s[20:23], 0 offen lds               // 0000000051F0: E0511000 80050046
	s_add_u32 m0, 0x100, s49                                   // 0000000051F8: 807C31FF 00000100
	v_mfma_f32_16x16x32_fp8_fp8 v[96:99], a[172:173], a[92:93], v[96:99]// 000000005200: D3F30060 1D82B9AC
	v_mfma_f32_16x16x32_fp8_fp8 v[96:99], a[174:175], a[94:95], v[96:99]// 000000005208: D3F30060 1D82BDAE
	buffer_load_dword v71, s[20:23], 0 offen lds               // 000000005210: E0511000 80050047
	s_add_u32 m0, 0x200, s49                                   // 000000005218: 807C31FF 00000200
	v_mfma_f32_16x16x32_fp8_fp8 v[100:103], a[168:169], a[96:97], v[100:103]// 000000005220: D3F30064 1D92C1A8
	v_mfma_f32_16x16x32_fp8_fp8 v[100:103], a[170:171], a[98:99], v[100:103]// 000000005228: D3F30064 1D92C5AA
	buffer_load_dword v72, s[20:23], 0 offen lds               // 000000005230: E0511000 80050048
	s_add_u32 m0, 0x300, s49                                   // 000000005238: 807C31FF 00000300
	v_mfma_f32_16x16x32_fp8_fp8 v[100:103], a[172:173], a[100:101], v[100:103]// 000000005240: D3F30064 1D92C9AC
	v_mfma_f32_16x16x32_fp8_fp8 v[100:103], a[174:175], a[102:103], v[100:103]// 000000005248: D3F30064 1D92CDAE
	buffer_load_dword v73, s[20:23], 0 offen lds               // 000000005250: E0511000 80050049
	s_add_u32 m0, 0x400, s49                                   // 000000005258: 807C31FF 00000400
	v_mfma_f32_16x16x32_fp8_fp8 v[104:107], a[168:169], a[104:105], v[104:107]// 000000005260: D3F30068 1DA2D1A8
	v_mfma_f32_16x16x32_fp8_fp8 v[104:107], a[170:171], a[106:107], v[104:107]// 000000005268: D3F30068 1DA2D5AA
	buffer_load_dword v74, s[20:23], 0 offen lds               // 000000005270: E0511000 8005004A
	s_add_u32 m0, 0x500, s49                                   // 000000005278: 807C31FF 00000500
	v_mfma_f32_16x16x32_fp8_fp8 v[104:107], a[172:173], a[108:109], v[104:107]// 000000005280: D3F30068 1DA2D9AC
	v_mfma_f32_16x16x32_fp8_fp8 v[104:107], a[174:175], a[110:111], v[104:107]// 000000005288: D3F30068 1DA2DDAE
	buffer_load_dword v75, s[20:23], 0 offen lds               // 000000005290: E0511000 8005004B
	s_add_u32 m0, 0x600, s49                                   // 000000005298: 807C31FF 00000600
	v_mfma_f32_16x16x32_fp8_fp8 v[108:111], a[168:169], a[112:113], v[108:111]// 0000000052A0: D3F3006C 1DB2E1A8
	v_mfma_f32_16x16x32_fp8_fp8 v[108:111], a[170:171], a[114:115], v[108:111]// 0000000052A8: D3F3006C 1DB2E5AA
	buffer_load_dword v76, s[20:23], 0 offen lds               // 0000000052B0: E0511000 8005004C
	s_add_u32 m0, 0x700, s49                                   // 0000000052B8: 807C31FF 00000700
	v_mfma_f32_16x16x32_fp8_fp8 v[108:111], a[172:173], a[116:117], v[108:111]// 0000000052C0: D3F3006C 1DB2E9AC
	v_mfma_f32_16x16x32_fp8_fp8 v[108:111], a[174:175], a[118:119], v[108:111]// 0000000052C8: D3F3006C 1DB2EDAE
	buffer_load_dword v77, s[20:23], 0 offen lds               // 0000000052D0: E0511000 8005004D
	s_add_u32 m0, 0x800, s49                                   // 0000000052D8: 807C31FF 00000800
	v_mfma_f32_16x16x32_fp8_fp8 v[112:115], a[168:169], a[120:121], v[112:115]// 0000000052E0: D3F30070 1DC2F1A8
	v_mfma_f32_16x16x32_fp8_fp8 v[112:115], a[170:171], a[122:123], v[112:115]// 0000000052E8: D3F30070 1DC2F5AA
	buffer_load_dword v78, s[20:23], 0 offen lds               // 0000000052F0: E0511000 8005004E
	s_add_u32 m0, 0x900, s49                                   // 0000000052F8: 807C31FF 00000900
	v_mfma_f32_16x16x32_fp8_fp8 v[112:115], a[172:173], a[124:125], v[112:115]// 000000005300: D3F30070 1DC2F9AC
	v_mfma_f32_16x16x32_fp8_fp8 v[112:115], a[174:175], a[126:127], v[112:115]// 000000005308: D3F30070 1DC2FDAE
	buffer_load_dword v79, s[20:23], 0 offen lds               // 000000005310: E0511000 8005004F
	s_add_u32 m0, 0xa00, s49                                   // 000000005318: 807C31FF 00000A00
	v_mfma_f32_16x16x32_fp8_fp8 v[116:119], a[168:169], a[128:129], v[116:119]// 000000005320: D3F30074 1DD301A8
	v_mfma_f32_16x16x32_fp8_fp8 v[116:119], a[170:171], a[130:131], v[116:119]// 000000005328: D3F30074 1DD305AA
	buffer_load_dword v80, s[20:23], 0 offen lds               // 000000005330: E0511000 80050050
	s_add_u32 m0, 0xb00, s49                                   // 000000005338: 807C31FF 00000B00
	v_mfma_f32_16x16x32_fp8_fp8 v[116:119], a[172:173], a[132:133], v[116:119]// 000000005340: D3F30074 1DD309AC
	v_mfma_f32_16x16x32_fp8_fp8 v[116:119], a[174:175], a[134:135], v[116:119]// 000000005348: D3F30074 1DD30DAE
	buffer_load_dword v81, s[20:23], 0 offen lds               // 000000005350: E0511000 80050051
	s_add_u32 m0, 0xc00, s49                                   // 000000005358: 807C31FF 00000C00
	v_mfma_f32_16x16x32_fp8_fp8 v[120:123], a[168:169], a[136:137], v[120:123]// 000000005360: D3F30078 1DE311A8
	v_mfma_f32_16x16x32_fp8_fp8 v[120:123], a[170:171], a[138:139], v[120:123]// 000000005368: D3F30078 1DE315AA
	buffer_load_dword v82, s[20:23], 0 offen lds               // 000000005370: E0511000 80050052
	s_add_u32 m0, 0xd00, s49                                   // 000000005378: 807C31FF 00000D00
	v_mfma_f32_16x16x32_fp8_fp8 v[120:123], a[172:173], a[140:141], v[120:123]// 000000005380: D3F30078 1DE319AC
	v_mfma_f32_16x16x32_fp8_fp8 v[120:123], a[174:175], a[142:143], v[120:123]// 000000005388: D3F30078 1DE31DAE
	buffer_load_dword v83, s[20:23], 0 offen lds               // 000000005390: E0511000 80050053
	s_add_u32 m0, 0xe00, s49                                   // 000000005398: 807C31FF 00000E00
	v_mfma_f32_16x16x32_fp8_fp8 v[124:127], a[168:169], a[144:145], v[124:127]// 0000000053A0: D3F3007C 1DF321A8
	v_mfma_f32_16x16x32_fp8_fp8 v[124:127], a[170:171], a[146:147], v[124:127]// 0000000053A8: D3F3007C 1DF325AA
	buffer_load_dword v84, s[20:23], 0 offen lds               // 0000000053B0: E0511000 80050054
	s_add_u32 m0, 0xf00, s49                                   // 0000000053B8: 807C31FF 00000F00
	v_mfma_f32_16x16x32_fp8_fp8 v[124:127], a[172:173], a[148:149], v[124:127]// 0000000053C0: D3F3007C 1DF329AC
	v_mfma_f32_16x16x32_fp8_fp8 v[124:127], a[174:175], a[150:151], v[124:127]// 0000000053C8: D3F3007C 1DF32DAE
	buffer_load_dword v85, s[20:23], 0 offen lds               // 0000000053D0: E0511000 80050055
	s_add_u32 m0, 0x1000, s49                                  // 0000000053D8: 807C31FF 00001000
	v_mfma_f32_16x16x32_fp8_fp8 v[128:131], a[168:169], a[152:153], v[128:131]// 0000000053E0: D3F30080 1E0331A8
	v_mfma_f32_16x16x32_fp8_fp8 v[128:131], a[170:171], a[154:155], v[128:131]// 0000000053E8: D3F30080 1E0335AA
	buffer_load_dword v86, s[20:23], 0 offen lds               // 0000000053F0: E0511000 80050056
	s_add_u32 m0, 0x1100, s49                                  // 0000000053F8: 807C31FF 00001100
	v_mfma_f32_16x16x32_fp8_fp8 v[128:131], a[172:173], a[156:157], v[128:131]// 000000005400: D3F30080 1E0339AC
	v_mfma_f32_16x16x32_fp8_fp8 v[128:131], a[174:175], a[158:159], v[128:131]// 000000005408: D3F30080 1E033DAE
	buffer_load_dword v87, s[20:23], 0 offen lds               // 000000005410: E0511000 80050057
	s_add_u32 m0, 0x1200, s49                                  // 000000005418: 807C31FF 00001200
	buffer_load_dword v88, s[20:23], 0 offen lds               // 000000005420: E0511000 80050058
	s_add_u32 m0, 0x1300, s49                                  // 000000005428: 807C31FF 00001300
	buffer_load_dword v89, s[20:23], 0 offen lds               // 000000005430: E0511000 80050059
	s_add_u32 m0, 0, s50                                       // 000000005438: 807C3280
	s_waitcnt vmcnt(22)                                        // 00000000543C: BF8C4F76
	s_barrier                                                  // 000000005440: BF8A0000
	v_mfma_f32_16x16x32_fp8_fp8 v[132:135], a[176:177], a[80:81], v[132:135]// 000000005444: D3F30084 1E12A1B0
	v_mfma_f32_16x16x32_fp8_fp8 v[132:135], a[178:179], a[82:83], v[132:135]// 00000000544C: D3F30084 1E12A5B2
	buffer_load_dwordx4 a[168:171], v90, s[84:87], 0 offen     // 000000005454: E05C1000 8095A85A
	v_mfma_f32_16x16x32_fp8_fp8 v[132:135], a[180:181], a[84:85], v[132:135]// 00000000545C: D3F30084 1E12A9B4
	v_mfma_f32_16x16x32_fp8_fp8 v[132:135], a[182:183], a[86:87], v[132:135]// 000000005464: D3F30084 1E12ADB6
	ds_read_b128 a[0:3], v2                                    // 00000000546C: DBFE0000 00000002
	ds_read_b128 a[4:7], v2 offset:64                          // 000000005474: DBFE0040 04000002
	v_mfma_f32_16x16x32_fp8_fp8 v[136:139], a[176:177], a[88:89], v[136:139]// 00000000547C: D3F30088 1E22B1B0
	v_mfma_f32_16x16x32_fp8_fp8 v[136:139], a[178:179], a[90:91], v[136:139]// 000000005484: D3F30088 1E22B5B2
	buffer_load_dwordx4 a[172:175], v90, s[84:87], 0 offen offset:1024// 00000000548C: E05C1400 8095AC5A
	v_mfma_f32_16x16x32_fp8_fp8 v[136:139], a[180:181], a[92:93], v[136:139]// 000000005494: D3F30088 1E22B9B4
	v_mfma_f32_16x16x32_fp8_fp8 v[136:139], a[182:183], a[94:95], v[136:139]// 00000000549C: D3F30088 1E22BDB6
	ds_read_b128 a[8:11], v2 offset:512                        // 0000000054A4: DBFE0200 08000002
	ds_read_b128 a[12:15], v2 offset:576                       // 0000000054AC: DBFE0240 0C000002
	v_mfma_f32_16x16x32_fp8_fp8 v[140:143], a[176:177], a[96:97], v[140:143]// 0000000054B4: D3F3008C 1E32C1B0
	v_mfma_f32_16x16x32_fp8_fp8 v[140:143], a[178:179], a[98:99], v[140:143]// 0000000054BC: D3F3008C 1E32C5B2
	v_mfma_f32_16x16x32_fp8_fp8 v[140:143], a[180:181], a[100:101], v[140:143]// 0000000054C4: D3F3008C 1E32C9B4
	v_mfma_f32_16x16x32_fp8_fp8 v[140:143], a[182:183], a[102:103], v[140:143]// 0000000054CC: D3F3008C 1E32CDB6
	ds_read_b128 a[16:19], v2 offset:1024                      // 0000000054D4: DBFE0400 10000002
	ds_read_b128 a[20:23], v2 offset:1088                      // 0000000054DC: DBFE0440 14000002
	v_mfma_f32_16x16x32_fp8_fp8 v[144:147], a[176:177], a[104:105], v[144:147]// 0000000054E4: D3F30090 1E42D1B0
	v_mfma_f32_16x16x32_fp8_fp8 v[144:147], a[178:179], a[106:107], v[144:147]// 0000000054EC: D3F30090 1E42D5B2
	v_mfma_f32_16x16x32_fp8_fp8 v[144:147], a[180:181], a[108:109], v[144:147]// 0000000054F4: D3F30090 1E42D9B4
	v_mfma_f32_16x16x32_fp8_fp8 v[144:147], a[182:183], a[110:111], v[144:147]// 0000000054FC: D3F30090 1E42DDB6
	ds_read_b128 a[24:27], v2 offset:1536                      // 000000005504: DBFE0600 18000002
	ds_read_b128 a[28:31], v2 offset:1600                      // 00000000550C: DBFE0640 1C000002
	v_mfma_f32_16x16x32_fp8_fp8 v[148:151], a[176:177], a[112:113], v[148:151]// 000000005514: D3F30094 1E52E1B0
	v_mfma_f32_16x16x32_fp8_fp8 v[148:151], a[178:179], a[114:115], v[148:151]// 00000000551C: D3F30094 1E52E5B2
	v_mfma_f32_16x16x32_fp8_fp8 v[148:151], a[180:181], a[116:117], v[148:151]// 000000005524: D3F30094 1E52E9B4
	v_mfma_f32_16x16x32_fp8_fp8 v[148:151], a[182:183], a[118:119], v[148:151]// 00000000552C: D3F30094 1E52EDB6
	ds_read_b128 a[32:35], v2 offset:2048                      // 000000005534: DBFE0800 20000002
	ds_read_b128 a[36:39], v2 offset:2112                      // 00000000553C: DBFE0840 24000002
	v_mfma_f32_16x16x32_fp8_fp8 v[152:155], a[176:177], a[120:121], v[152:155]// 000000005544: D3F30098 1E62F1B0
	v_mfma_f32_16x16x32_fp8_fp8 v[152:155], a[178:179], a[122:123], v[152:155]// 00000000554C: D3F30098 1E62F5B2
	v_mfma_f32_16x16x32_fp8_fp8 v[152:155], a[180:181], a[124:125], v[152:155]// 000000005554: D3F30098 1E62F9B4
	v_mfma_f32_16x16x32_fp8_fp8 v[152:155], a[182:183], a[126:127], v[152:155]// 00000000555C: D3F30098 1E62FDB6
	ds_read_b128 a[40:43], v2 offset:2560                      // 000000005564: DBFE0A00 28000002
	ds_read_b128 a[44:47], v2 offset:2624                      // 00000000556C: DBFE0A40 2C000002
	v_mfma_f32_16x16x32_fp8_fp8 v[156:159], a[176:177], a[128:129], v[156:159]// 000000005574: D3F3009C 1E7301B0
	v_mfma_f32_16x16x32_fp8_fp8 v[156:159], a[178:179], a[130:131], v[156:159]// 00000000557C: D3F3009C 1E7305B2
	v_mfma_f32_16x16x32_fp8_fp8 v[156:159], a[180:181], a[132:133], v[156:159]// 000000005584: D3F3009C 1E7309B4
	v_mfma_f32_16x16x32_fp8_fp8 v[156:159], a[182:183], a[134:135], v[156:159]// 00000000558C: D3F3009C 1E730DB6
	ds_read_b128 a[48:51], v2 offset:3072                      // 000000005594: DBFE0C00 30000002
	ds_read_b128 a[52:55], v2 offset:3136                      // 00000000559C: DBFE0C40 34000002
	v_mfma_f32_16x16x32_fp8_fp8 v[160:163], a[176:177], a[136:137], v[160:163]// 0000000055A4: D3F300A0 1E8311B0
	v_mfma_f32_16x16x32_fp8_fp8 v[160:163], a[178:179], a[138:139], v[160:163]// 0000000055AC: D3F300A0 1E8315B2
	v_mfma_f32_16x16x32_fp8_fp8 v[160:163], a[180:181], a[140:141], v[160:163]// 0000000055B4: D3F300A0 1E8319B4
	v_mfma_f32_16x16x32_fp8_fp8 v[160:163], a[182:183], a[142:143], v[160:163]// 0000000055BC: D3F300A0 1E831DB6
	ds_read_b128 a[56:59], v2 offset:3584                      // 0000000055C4: DBFE0E00 38000002
	ds_read_b128 a[60:63], v2 offset:3648                      // 0000000055CC: DBFE0E40 3C000002
	v_mfma_f32_16x16x32_fp8_fp8 v[164:167], a[176:177], a[144:145], v[164:167]// 0000000055D4: D3F300A4 1E9321B0
	s_add_u32 s60, 0x180, s80                                  // 0000000055DC: 803C50FF 00000180
	s_cmp_lt_u32 s60, s81                                      // 0000000055E4: BF0A513C
	s_cselect_b32 s57, s57, 0                                  // 0000000055E8: 85398039
	v_mfma_f32_16x16x32_fp8_fp8 v[164:167], a[178:179], a[146:147], v[164:167]// 0000000055EC: D3F300A4 1E9325B2
	s_add_u32 s60, 0x100, s80                                  // 0000000055F4: 803C50FF 00000100
	s_cmp_lt_u32 s60, s81                                      // 0000000055FC: BF0A513C
	s_cselect_b32 s58, s58, 0                                  // 000000005600: 853A803A
	v_mfma_f32_16x16x32_fp8_fp8 v[164:167], a[180:181], a[148:149], v[164:167]// 000000005604: D3F300A4 1E9329B4
	s_add_u32 s60, 0x100, s80                                  // 00000000560C: 803C50FF 00000100
	s_cmp_lt_u32 s60, s81                                      // 000000005614: BF0A513C
	s_cselect_b32 s83, s83, 0                                  // 000000005618: 85538053
	v_mfma_f32_16x16x32_fp8_fp8 v[164:167], a[182:183], a[150:151], v[164:167]// 00000000561C: D3F300A4 1E932DB6
	ds_read_b128 a[64:67], v2 offset:4096                      // 000000005624: DBFE1000 40000002
	ds_read_b128 a[68:71], v2 offset:4160                      // 00000000562C: DBFE1040 44000002
	s_add_u32 s24, s58, s24                                    // 000000005634: 8018183A
	s_addc_u32 s25, 0, s25                                     // 000000005638: 82191980
	v_mfma_f32_16x16x32_fp8_fp8 v[168:171], a[176:177], a[152:153], v[168:171]// 00000000563C: D3F300A8 1EA331B0
	s_add_u32 s20, s57, s20                                    // 000000005644: 80141439
	s_addc_u32 s21, 0, s21                                     // 000000005648: 82151580
	v_mfma_f32_16x16x32_fp8_fp8 v[168:171], a[178:179], a[154:155], v[168:171]// 00000000564C: D3F300A8 1EA335B2
	s_add_u32 s84, s83, s84                                    // 000000005654: 80545453
	s_addc_u32 s85, 0, s85                                     // 000000005658: 82555580
	v_mfma_f32_16x16x32_fp8_fp8 v[168:171], a[180:181], a[156:157], v[168:171]// 00000000565C: D3F300A8 1EA339B4
	v_mfma_f32_16x16x32_fp8_fp8 v[168:171], a[182:183], a[158:159], v[168:171]// 000000005664: D3F300A8 1EA33DB6
	ds_read_b128 a[72:75], v2 offset:4608                      // 00000000566C: DBFE1200 48000002
	ds_read_b128 a[76:79], v2 offset:4672                      // 000000005674: DBFE1240 4C000002
	s_addk_i32 s80, 0x80                                       // 00000000567C: B7500080
	s_cmp_lt_i32 s80, s81                                      // 000000005680: BF045150
	s_cbranch_scc0 label_0B23                                  // 000000005684: BF840001
	s_branch label_03D8                                        // 000000005688: BF82F8B5

000000000000568c <label_0B23>:
	v_mul_f32_dpp v92, v24, v92 row_newbcast:0 row_mask:0xf bank_mask:0xf// 00000000568C: 0AB8B8FA FF015018
	v_mul_f32_dpp v93, v24, v93 row_newbcast:1 row_mask:0xf bank_mask:0xf// 000000005694: 0ABABAFA FF015118
	v_mul_f32_dpp v94, v24, v94 row_newbcast:2 row_mask:0xf bank_mask:0xf// 00000000569C: 0ABCBCFA FF015218
	v_mul_f32_dpp v95, v24, v95 row_newbcast:3 row_mask:0xf bank_mask:0xf// 0000000056A4: 0ABEBEFA FF015318
	v_mul_f32_dpp v96, v24, v96 row_newbcast:0 row_mask:0xf bank_mask:0xf// 0000000056AC: 0AC0C0FA FF015018
	v_mul_f32_dpp v97, v24, v97 row_newbcast:1 row_mask:0xf bank_mask:0xf// 0000000056B4: 0AC2C2FA FF015118
	v_mul_f32_dpp v98, v24, v98 row_newbcast:2 row_mask:0xf bank_mask:0xf// 0000000056BC: 0AC4C4FA FF015218
	v_mul_f32_dpp v99, v24, v99 row_newbcast:3 row_mask:0xf bank_mask:0xf// 0000000056C4: 0AC6C6FA FF015318
	v_mul_f32_dpp v100, v24, v100 row_newbcast:0 row_mask:0xf bank_mask:0xf// 0000000056CC: 0AC8C8FA FF015018
	v_mul_f32_dpp v101, v24, v101 row_newbcast:1 row_mask:0xf bank_mask:0xf// 0000000056D4: 0ACACAFA FF015118
	v_mul_f32_dpp v102, v24, v102 row_newbcast:2 row_mask:0xf bank_mask:0xf// 0000000056DC: 0ACCCCFA FF015218
	v_mul_f32_dpp v103, v24, v103 row_newbcast:3 row_mask:0xf bank_mask:0xf// 0000000056E4: 0ACECEFA FF015318
	v_mul_f32_dpp v104, v24, v104 row_newbcast:0 row_mask:0xf bank_mask:0xf// 0000000056EC: 0AD0D0FA FF015018
	v_mul_f32_dpp v105, v24, v105 row_newbcast:1 row_mask:0xf bank_mask:0xf// 0000000056F4: 0AD2D2FA FF015118
	v_mul_f32_dpp v106, v24, v106 row_newbcast:2 row_mask:0xf bank_mask:0xf// 0000000056FC: 0AD4D4FA FF015218
	v_mul_f32_dpp v107, v24, v107 row_newbcast:3 row_mask:0xf bank_mask:0xf// 000000005704: 0AD6D6FA FF015318
	v_mul_f32_dpp v108, v24, v108 row_newbcast:0 row_mask:0xf bank_mask:0xf// 00000000570C: 0AD8D8FA FF015018
	v_mul_f32_dpp v109, v24, v109 row_newbcast:1 row_mask:0xf bank_mask:0xf// 000000005714: 0ADADAFA FF015118
	v_mul_f32_dpp v110, v24, v110 row_newbcast:2 row_mask:0xf bank_mask:0xf// 00000000571C: 0ADCDCFA FF015218
	v_mul_f32_dpp v111, v24, v111 row_newbcast:3 row_mask:0xf bank_mask:0xf// 000000005724: 0ADEDEFA FF015318
	v_mul_f32_dpp v112, v24, v112 row_newbcast:0 row_mask:0xf bank_mask:0xf// 00000000572C: 0AE0E0FA FF015018
	v_mul_f32_dpp v113, v24, v113 row_newbcast:1 row_mask:0xf bank_mask:0xf// 000000005734: 0AE2E2FA FF015118
	v_mul_f32_dpp v114, v24, v114 row_newbcast:2 row_mask:0xf bank_mask:0xf// 00000000573C: 0AE4E4FA FF015218
	v_mul_f32_dpp v115, v24, v115 row_newbcast:3 row_mask:0xf bank_mask:0xf// 000000005744: 0AE6E6FA FF015318
	v_mul_f32_dpp v116, v24, v116 row_newbcast:0 row_mask:0xf bank_mask:0xf// 00000000574C: 0AE8E8FA FF015018
	v_mul_f32_dpp v117, v24, v117 row_newbcast:1 row_mask:0xf bank_mask:0xf// 000000005754: 0AEAEAFA FF015118
	v_mul_f32_dpp v118, v24, v118 row_newbcast:2 row_mask:0xf bank_mask:0xf// 00000000575C: 0AECECFA FF015218
	v_mul_f32_dpp v119, v24, v119 row_newbcast:3 row_mask:0xf bank_mask:0xf// 000000005764: 0AEEEEFA FF015318
	v_mul_f32_dpp v120, v24, v120 row_newbcast:0 row_mask:0xf bank_mask:0xf// 00000000576C: 0AF0F0FA FF015018
	v_mul_f32_dpp v121, v24, v121 row_newbcast:1 row_mask:0xf bank_mask:0xf// 000000005774: 0AF2F2FA FF015118
	v_mul_f32_dpp v122, v24, v122 row_newbcast:2 row_mask:0xf bank_mask:0xf// 00000000577C: 0AF4F4FA FF015218
	v_mul_f32_dpp v123, v24, v123 row_newbcast:3 row_mask:0xf bank_mask:0xf// 000000005784: 0AF6F6FA FF015318
	v_mul_f32_dpp v124, v24, v124 row_newbcast:0 row_mask:0xf bank_mask:0xf// 00000000578C: 0AF8F8FA FF015018
	v_mul_f32_dpp v125, v24, v125 row_newbcast:1 row_mask:0xf bank_mask:0xf// 000000005794: 0AFAFAFA FF015118
	v_mul_f32_dpp v126, v24, v126 row_newbcast:2 row_mask:0xf bank_mask:0xf// 00000000579C: 0AFCFCFA FF015218
	v_mul_f32_dpp v127, v24, v127 row_newbcast:3 row_mask:0xf bank_mask:0xf// 0000000057A4: 0AFEFEFA FF015318
	v_mul_f32_dpp v128, v24, v128 row_newbcast:0 row_mask:0xf bank_mask:0xf// 0000000057AC: 0B0100FA FF015018
	v_mul_f32_dpp v129, v24, v129 row_newbcast:1 row_mask:0xf bank_mask:0xf// 0000000057B4: 0B0302FA FF015118
	v_mul_f32_dpp v130, v24, v130 row_newbcast:2 row_mask:0xf bank_mask:0xf// 0000000057BC: 0B0504FA FF015218
	v_mul_f32_dpp v131, v24, v131 row_newbcast:3 row_mask:0xf bank_mask:0xf// 0000000057C4: 0B0706FA FF015318
	v_mul_f32_dpp v132, v27, v132 row_newbcast:0 row_mask:0xf bank_mask:0xf// 0000000057CC: 0B0908FA FF01501B
	v_mul_f32_dpp v133, v27, v133 row_newbcast:1 row_mask:0xf bank_mask:0xf// 0000000057D4: 0B0B0AFA FF01511B
	v_mul_f32_dpp v134, v27, v134 row_newbcast:2 row_mask:0xf bank_mask:0xf// 0000000057DC: 0B0D0CFA FF01521B
	v_mul_f32_dpp v135, v27, v135 row_newbcast:3 row_mask:0xf bank_mask:0xf// 0000000057E4: 0B0F0EFA FF01531B
	v_mul_f32_dpp v136, v27, v136 row_newbcast:0 row_mask:0xf bank_mask:0xf// 0000000057EC: 0B1110FA FF01501B
	v_mul_f32_dpp v137, v27, v137 row_newbcast:1 row_mask:0xf bank_mask:0xf// 0000000057F4: 0B1312FA FF01511B
	v_mul_f32_dpp v138, v27, v138 row_newbcast:2 row_mask:0xf bank_mask:0xf// 0000000057FC: 0B1514FA FF01521B
	v_mul_f32_dpp v139, v27, v139 row_newbcast:3 row_mask:0xf bank_mask:0xf// 000000005804: 0B1716FA FF01531B
	v_mul_f32_dpp v140, v27, v140 row_newbcast:0 row_mask:0xf bank_mask:0xf// 00000000580C: 0B1918FA FF01501B
	v_mul_f32_dpp v141, v27, v141 row_newbcast:1 row_mask:0xf bank_mask:0xf// 000000005814: 0B1B1AFA FF01511B
	v_mul_f32_dpp v142, v27, v142 row_newbcast:2 row_mask:0xf bank_mask:0xf// 00000000581C: 0B1D1CFA FF01521B
	v_mul_f32_dpp v143, v27, v143 row_newbcast:3 row_mask:0xf bank_mask:0xf// 000000005824: 0B1F1EFA FF01531B
	v_mul_f32_dpp v144, v27, v144 row_newbcast:0 row_mask:0xf bank_mask:0xf// 00000000582C: 0B2120FA FF01501B
	v_mul_f32_dpp v145, v27, v145 row_newbcast:1 row_mask:0xf bank_mask:0xf// 000000005834: 0B2322FA FF01511B
	v_mul_f32_dpp v146, v27, v146 row_newbcast:2 row_mask:0xf bank_mask:0xf// 00000000583C: 0B2524FA FF01521B
	v_mul_f32_dpp v147, v27, v147 row_newbcast:3 row_mask:0xf bank_mask:0xf// 000000005844: 0B2726FA FF01531B
	v_mul_f32_dpp v148, v27, v148 row_newbcast:0 row_mask:0xf bank_mask:0xf// 00000000584C: 0B2928FA FF01501B
	v_mul_f32_dpp v149, v27, v149 row_newbcast:1 row_mask:0xf bank_mask:0xf// 000000005854: 0B2B2AFA FF01511B
	v_mul_f32_dpp v150, v27, v150 row_newbcast:2 row_mask:0xf bank_mask:0xf// 00000000585C: 0B2D2CFA FF01521B
	v_mul_f32_dpp v151, v27, v151 row_newbcast:3 row_mask:0xf bank_mask:0xf// 000000005864: 0B2F2EFA FF01531B
	v_mul_f32_dpp v152, v27, v152 row_newbcast:0 row_mask:0xf bank_mask:0xf// 00000000586C: 0B3130FA FF01501B
	v_mul_f32_dpp v153, v27, v153 row_newbcast:1 row_mask:0xf bank_mask:0xf// 000000005874: 0B3332FA FF01511B
	v_mul_f32_dpp v154, v27, v154 row_newbcast:2 row_mask:0xf bank_mask:0xf// 00000000587C: 0B3534FA FF01521B
	v_mul_f32_dpp v155, v27, v155 row_newbcast:3 row_mask:0xf bank_mask:0xf// 000000005884: 0B3736FA FF01531B
	v_mul_f32_dpp v156, v27, v156 row_newbcast:0 row_mask:0xf bank_mask:0xf// 00000000588C: 0B3938FA FF01501B
	v_mul_f32_dpp v157, v27, v157 row_newbcast:1 row_mask:0xf bank_mask:0xf// 000000005894: 0B3B3AFA FF01511B
	v_mul_f32_dpp v158, v27, v158 row_newbcast:2 row_mask:0xf bank_mask:0xf// 00000000589C: 0B3D3CFA FF01521B
	v_mul_f32_dpp v159, v27, v159 row_newbcast:3 row_mask:0xf bank_mask:0xf// 0000000058A4: 0B3F3EFA FF01531B
	v_mul_f32_dpp v160, v27, v160 row_newbcast:0 row_mask:0xf bank_mask:0xf// 0000000058AC: 0B4140FA FF01501B
	v_mul_f32_dpp v161, v27, v161 row_newbcast:1 row_mask:0xf bank_mask:0xf// 0000000058B4: 0B4342FA FF01511B
	v_mul_f32_dpp v162, v27, v162 row_newbcast:2 row_mask:0xf bank_mask:0xf// 0000000058BC: 0B4544FA FF01521B
	v_mul_f32_dpp v163, v27, v163 row_newbcast:3 row_mask:0xf bank_mask:0xf// 0000000058C4: 0B4746FA FF01531B
	v_mul_f32_dpp v164, v27, v164 row_newbcast:0 row_mask:0xf bank_mask:0xf// 0000000058CC: 0B4948FA FF01501B
	v_mul_f32_dpp v165, v27, v165 row_newbcast:1 row_mask:0xf bank_mask:0xf// 0000000058D4: 0B4B4AFA FF01511B
	v_mul_f32_dpp v166, v27, v166 row_newbcast:2 row_mask:0xf bank_mask:0xf// 0000000058DC: 0B4D4CFA FF01521B
	v_mul_f32_dpp v167, v27, v167 row_newbcast:3 row_mask:0xf bank_mask:0xf// 0000000058E4: 0B4F4EFA FF01531B
	v_mul_f32_dpp v168, v27, v168 row_newbcast:0 row_mask:0xf bank_mask:0xf// 0000000058EC: 0B5150FA FF01501B
	v_mul_f32_dpp v169, v27, v169 row_newbcast:1 row_mask:0xf bank_mask:0xf// 0000000058F4: 0B5352FA FF01511B
	v_mul_f32_dpp v170, v27, v170 row_newbcast:2 row_mask:0xf bank_mask:0xf// 0000000058FC: 0B5554FA FF01521B
	v_mul_f32_dpp v171, v27, v171 row_newbcast:3 row_mask:0xf bank_mask:0xf// 000000005904: 0B5756FA FF01531B
	v_mov_b32_e32 v4, v40                                      // 00000000590C: 7E080328
	v_mov_b32_e32 v5, v4                                       // 000000005910: 7E0A0304
	v_pk_mul_f32 v[92:93], v[4:5], v[92:93]                    // 000000005914: D3B1405C 1802B904
	v_pk_mul_f32 v[132:133], v[4:5], v[132:133]                // 00000000591C: D3B14084 18030904
	v_pk_mul_f32 v[94:95], v[4:5], v[94:95]                    // 000000005924: D3B1405E 1802BD04
	v_pk_mul_f32 v[134:135], v[4:5], v[134:135]                // 00000000592C: D3B14086 18030D04
	v_mov_b32_e32 v4, v41                                      // 000000005934: 7E080329
	v_mov_b32_e32 v5, v4                                       // 000000005938: 7E0A0304
	v_pk_mul_f32 v[96:97], v[4:5], v[96:97]                    // 00000000593C: D3B14060 1802C104
	v_pk_mul_f32 v[136:137], v[4:5], v[136:137]                // 000000005944: D3B14088 18031104
	v_pk_mul_f32 v[98:99], v[4:5], v[98:99]                    // 00000000594C: D3B14062 1802C504
	v_pk_mul_f32 v[138:139], v[4:5], v[138:139]                // 000000005954: D3B1408A 18031504
	v_mov_b32_e32 v4, v42                                      // 00000000595C: 7E08032A
	v_mov_b32_e32 v5, v4                                       // 000000005960: 7E0A0304
	v_pk_mul_f32 v[100:101], v[4:5], v[100:101]                // 000000005964: D3B14064 1802C904
	v_pk_mul_f32 v[140:141], v[4:5], v[140:141]                // 00000000596C: D3B1408C 18031904
	v_pk_mul_f32 v[102:103], v[4:5], v[102:103]                // 000000005974: D3B14066 1802CD04
	v_pk_mul_f32 v[142:143], v[4:5], v[142:143]                // 00000000597C: D3B1408E 18031D04
	v_mov_b32_e32 v4, v43                                      // 000000005984: 7E08032B
	v_mov_b32_e32 v5, v4                                       // 000000005988: 7E0A0304
	v_pk_mul_f32 v[104:105], v[4:5], v[104:105]                // 00000000598C: D3B14068 1802D104
	v_pk_mul_f32 v[144:145], v[4:5], v[144:145]                // 000000005994: D3B14090 18032104
	v_pk_mul_f32 v[106:107], v[4:5], v[106:107]                // 00000000599C: D3B1406A 1802D504
	v_pk_mul_f32 v[146:147], v[4:5], v[146:147]                // 0000000059A4: D3B14092 18032504
	v_mov_b32_e32 v4, v44                                      // 0000000059AC: 7E08032C
	v_mov_b32_e32 v5, v4                                       // 0000000059B0: 7E0A0304
	v_pk_mul_f32 v[108:109], v[4:5], v[108:109]                // 0000000059B4: D3B1406C 1802D904
	v_pk_mul_f32 v[148:149], v[4:5], v[148:149]                // 0000000059BC: D3B14094 18032904
	v_pk_mul_f32 v[110:111], v[4:5], v[110:111]                // 0000000059C4: D3B1406E 1802DD04
	v_pk_mul_f32 v[150:151], v[4:5], v[150:151]                // 0000000059CC: D3B14096 18032D04
	v_mov_b32_e32 v4, v45                                      // 0000000059D4: 7E08032D
	v_mov_b32_e32 v5, v4                                       // 0000000059D8: 7E0A0304
	v_pk_mul_f32 v[112:113], v[4:5], v[112:113]                // 0000000059DC: D3B14070 1802E104
	v_pk_mul_f32 v[152:153], v[4:5], v[152:153]                // 0000000059E4: D3B14098 18033104
	v_pk_mul_f32 v[114:115], v[4:5], v[114:115]                // 0000000059EC: D3B14072 1802E504
	v_pk_mul_f32 v[154:155], v[4:5], v[154:155]                // 0000000059F4: D3B1409A 18033504
	v_mov_b32_e32 v4, v46                                      // 0000000059FC: 7E08032E
	v_mov_b32_e32 v5, v4                                       // 000000005A00: 7E0A0304
	v_pk_mul_f32 v[116:117], v[4:5], v[116:117]                // 000000005A04: D3B14074 1802E904
	v_pk_mul_f32 v[156:157], v[4:5], v[156:157]                // 000000005A0C: D3B1409C 18033904
	v_pk_mul_f32 v[118:119], v[4:5], v[118:119]                // 000000005A14: D3B14076 1802ED04
	v_pk_mul_f32 v[158:159], v[4:5], v[158:159]                // 000000005A1C: D3B1409E 18033D04
	v_mov_b32_e32 v4, v47                                      // 000000005A24: 7E08032F
	v_mov_b32_e32 v5, v4                                       // 000000005A28: 7E0A0304
	v_pk_mul_f32 v[120:121], v[4:5], v[120:121]                // 000000005A2C: D3B14078 1802F104
	v_pk_mul_f32 v[160:161], v[4:5], v[160:161]                // 000000005A34: D3B140A0 18034104
	v_pk_mul_f32 v[122:123], v[4:5], v[122:123]                // 000000005A3C: D3B1407A 1802F504
	v_pk_mul_f32 v[162:163], v[4:5], v[162:163]                // 000000005A44: D3B140A2 18034504
	v_mov_b32_e32 v4, v48                                      // 000000005A4C: 7E080330
	v_mov_b32_e32 v5, v4                                       // 000000005A50: 7E0A0304
	v_pk_mul_f32 v[124:125], v[4:5], v[124:125]                // 000000005A54: D3B1407C 1802F904
	v_pk_mul_f32 v[164:165], v[4:5], v[164:165]                // 000000005A5C: D3B140A4 18034904
	v_pk_mul_f32 v[126:127], v[4:5], v[126:127]                // 000000005A64: D3B1407E 1802FD04
	v_pk_mul_f32 v[166:167], v[4:5], v[166:167]                // 000000005A6C: D3B140A6 18034D04
	v_mov_b32_e32 v4, v49                                      // 000000005A74: 7E080331
	v_mov_b32_e32 v5, v4                                       // 000000005A78: 7E0A0304
	v_pk_mul_f32 v[128:129], v[4:5], v[128:129]                // 000000005A7C: D3B14080 18030104
	v_pk_mul_f32 v[168:169], v[4:5], v[168:169]                // 000000005A84: D3B140A8 18035104
	v_pk_mul_f32 v[130:131], v[4:5], v[130:131]                // 000000005A8C: D3B14082 18030504
	v_pk_mul_f32 v[170:171], v[4:5], v[170:171]                // 000000005A94: D3B140AA 18035504
	s_cmp_eq_u32 s88, 0                                        // 000000005A9C: BF068058
	s_cbranch_scc0 label_138E                                  // 000000005AA0: BF840765
	s_cmp_eq_u32 s89, 0                                        // 000000005AA4: BF068059
	s_cbranch_scc1 label_0DC0                                  // 000000005AA8: BF850195
	v_mov_b32_e32 v8, v1                                       // 000000005AAC: 7E100301
	v_mov_b32_e32 v9, v1                                       // 000000005AB0: 7E120301
	s_mov_b32 s60, s6                                          // 000000005AB4: BEBC0006
	s_mov_b32 s61, s6                                          // 000000005AB8: BEBD0006
	v_pk_mul_f32 v[4:5], v[92:93], v[92:93]                    // 000000005ABC: D3B14004 1802B95C
	v_pk_mul_f32 v[6:7], v[94:95], v[94:95]                    // 000000005AC4: D3B14006 1802BD5E
	v_pk_fma_f32 v[4:5], v[4:5], s[78:79], v[8:9]              // 000000005ACC: D3B04004 1C209D04
	v_pk_fma_f32 v[6:7], v[6:7], s[78:79], v[8:9]              // 000000005AD4: D3B04006 1C209D06
	v_pk_mul_f32 v[4:5], v[4:5], v[92:93]                      // 000000005ADC: D3B14004 1802B904
	v_pk_mul_f32 v[6:7], v[6:7], v[94:95]                      // 000000005AE4: D3B14006 1802BD06
	v_pk_mul_f32 v[4:5], v[4:5], s[60:61]                      // 000000005AEC: D3B14004 18007904
	v_pk_mul_f32 v[6:7], v[6:7], s[60:61]                      // 000000005AF4: D3B14006 18007906
	v_exp_f32_e32 v4, v4                                       // 000000005AFC: 7E084104
	v_exp_f32_e32 v5, v5                                       // 000000005B00: 7E0A4105
	v_exp_f32_e32 v6, v6                                       // 000000005B04: 7E0C4106
	v_exp_f32_e32 v7, v7                                       // 000000005B08: 7E0E4107
	v_add_f32_e64 v4, v4, 1.0                                  // 000000005B0C: D1010004 0001E504
	v_add_f32_e64 v5, v5, 1.0                                  // 000000005B14: D1010005 0001E505
	v_add_f32_e64 v6, v6, 1.0                                  // 000000005B1C: D1010006 0001E506
	v_add_f32_e64 v7, v7, 1.0                                  // 000000005B24: D1010007 0001E507
	v_rcp_f32_e32 v4, v4                                       // 000000005B2C: 7E084504
	v_rcp_f32_e32 v5, v5                                       // 000000005B30: 7E0A4505
	v_rcp_f32_e32 v6, v6                                       // 000000005B34: 7E0C4506
	v_rcp_f32_e32 v7, v7                                       // 000000005B38: 7E0E4507
	v_mul_f32_e32 v92, v92, v4                                 // 000000005B3C: 0AB8095C
	v_mul_f32_e32 v93, v93, v5                                 // 000000005B40: 0ABA0B5D
	v_mul_f32_e32 v94, v94, v6                                 // 000000005B44: 0ABC0D5E
	v_mul_f32_e32 v95, v95, v7                                 // 000000005B48: 0ABE0F5F
	v_mul_f32_e32 v92, v92, v132                               // 000000005B4C: 0AB9095C
	v_mul_f32_e32 v93, v93, v133                               // 000000005B50: 0ABB0B5D
	v_mul_f32_e32 v94, v94, v134                               // 000000005B54: 0ABD0D5E
	v_mul_f32_e32 v95, v95, v135                               // 000000005B58: 0ABF0F5F
	v_pk_mul_f32 v[4:5], v[96:97], v[96:97]                    // 000000005B5C: D3B14004 1802C160
	v_pk_mul_f32 v[6:7], v[98:99], v[98:99]                    // 000000005B64: D3B14006 1802C562
	v_pk_fma_f32 v[4:5], v[4:5], s[78:79], v[8:9]              // 000000005B6C: D3B04004 1C209D04
	v_pk_fma_f32 v[6:7], v[6:7], s[78:79], v[8:9]              // 000000005B74: D3B04006 1C209D06
	v_pk_mul_f32 v[4:5], v[4:5], v[96:97]                      // 000000005B7C: D3B14004 1802C104
	v_pk_mul_f32 v[6:7], v[6:7], v[98:99]                      // 000000005B84: D3B14006 1802C506
	v_pk_mul_f32 v[4:5], v[4:5], s[60:61]                      // 000000005B8C: D3B14004 18007904
	v_pk_mul_f32 v[6:7], v[6:7], s[60:61]                      // 000000005B94: D3B14006 18007906
	v_exp_f32_e32 v4, v4                                       // 000000005B9C: 7E084104
	v_exp_f32_e32 v5, v5                                       // 000000005BA0: 7E0A4105
	v_exp_f32_e32 v6, v6                                       // 000000005BA4: 7E0C4106
	v_exp_f32_e32 v7, v7                                       // 000000005BA8: 7E0E4107
	v_add_f32_e64 v4, v4, 1.0                                  // 000000005BAC: D1010004 0001E504
	v_add_f32_e64 v5, v5, 1.0                                  // 000000005BB4: D1010005 0001E505
	v_add_f32_e64 v6, v6, 1.0                                  // 000000005BBC: D1010006 0001E506
	v_add_f32_e64 v7, v7, 1.0                                  // 000000005BC4: D1010007 0001E507
	v_rcp_f32_e32 v4, v4                                       // 000000005BCC: 7E084504
	v_rcp_f32_e32 v5, v5                                       // 000000005BD0: 7E0A4505
	v_rcp_f32_e32 v6, v6                                       // 000000005BD4: 7E0C4506
	v_rcp_f32_e32 v7, v7                                       // 000000005BD8: 7E0E4507
	v_mul_f32_e32 v96, v96, v4                                 // 000000005BDC: 0AC00960
	v_mul_f32_e32 v97, v97, v5                                 // 000000005BE0: 0AC20B61
	v_mul_f32_e32 v98, v98, v6                                 // 000000005BE4: 0AC40D62
	v_mul_f32_e32 v99, v99, v7                                 // 000000005BE8: 0AC60F63
	v_mul_f32_e32 v96, v96, v136                               // 000000005BEC: 0AC11160
	v_mul_f32_e32 v97, v97, v137                               // 000000005BF0: 0AC31361
	v_mul_f32_e32 v98, v98, v138                               // 000000005BF4: 0AC51562
	v_mul_f32_e32 v99, v99, v139                               // 000000005BF8: 0AC71763
	v_pk_mul_f32 v[4:5], v[100:101], v[100:101]                // 000000005BFC: D3B14004 1802C964
	v_pk_mul_f32 v[6:7], v[102:103], v[102:103]                // 000000005C04: D3B14006 1802CD66
	v_pk_fma_f32 v[4:5], v[4:5], s[78:79], v[8:9]              // 000000005C0C: D3B04004 1C209D04
	v_pk_fma_f32 v[6:7], v[6:7], s[78:79], v[8:9]              // 000000005C14: D3B04006 1C209D06
	v_pk_mul_f32 v[4:5], v[4:5], v[100:101]                    // 000000005C1C: D3B14004 1802C904
	v_pk_mul_f32 v[6:7], v[6:7], v[102:103]                    // 000000005C24: D3B14006 1802CD06
	v_pk_mul_f32 v[4:5], v[4:5], s[60:61]                      // 000000005C2C: D3B14004 18007904
	v_pk_mul_f32 v[6:7], v[6:7], s[60:61]                      // 000000005C34: D3B14006 18007906
	v_exp_f32_e32 v4, v4                                       // 000000005C3C: 7E084104
	v_exp_f32_e32 v5, v5                                       // 000000005C40: 7E0A4105
	v_exp_f32_e32 v6, v6                                       // 000000005C44: 7E0C4106
	v_exp_f32_e32 v7, v7                                       // 000000005C48: 7E0E4107
	v_add_f32_e64 v4, v4, 1.0                                  // 000000005C4C: D1010004 0001E504
	v_add_f32_e64 v5, v5, 1.0                                  // 000000005C54: D1010005 0001E505
	v_add_f32_e64 v6, v6, 1.0                                  // 000000005C5C: D1010006 0001E506
	v_add_f32_e64 v7, v7, 1.0                                  // 000000005C64: D1010007 0001E507
	v_rcp_f32_e32 v4, v4                                       // 000000005C6C: 7E084504
	v_rcp_f32_e32 v5, v5                                       // 000000005C70: 7E0A4505
	v_rcp_f32_e32 v6, v6                                       // 000000005C74: 7E0C4506
	v_rcp_f32_e32 v7, v7                                       // 000000005C78: 7E0E4507
	v_mul_f32_e32 v100, v100, v4                               // 000000005C7C: 0AC80964
	v_mul_f32_e32 v101, v101, v5                               // 000000005C80: 0ACA0B65
	v_mul_f32_e32 v102, v102, v6                               // 000000005C84: 0ACC0D66
	v_mul_f32_e32 v103, v103, v7                               // 000000005C88: 0ACE0F67
	v_mul_f32_e32 v100, v100, v140                             // 000000005C8C: 0AC91964
	v_mul_f32_e32 v101, v101, v141                             // 000000005C90: 0ACB1B65
	v_mul_f32_e32 v102, v102, v142                             // 000000005C94: 0ACD1D66
	v_mul_f32_e32 v103, v103, v143                             // 000000005C98: 0ACF1F67
	v_pk_mul_f32 v[4:5], v[104:105], v[104:105]                // 000000005C9C: D3B14004 1802D168
	v_pk_mul_f32 v[6:7], v[106:107], v[106:107]                // 000000005CA4: D3B14006 1802D56A
	v_pk_fma_f32 v[4:5], v[4:5], s[78:79], v[8:9]              // 000000005CAC: D3B04004 1C209D04
	v_pk_fma_f32 v[6:7], v[6:7], s[78:79], v[8:9]              // 000000005CB4: D3B04006 1C209D06
	v_pk_mul_f32 v[4:5], v[4:5], v[104:105]                    // 000000005CBC: D3B14004 1802D104
	v_pk_mul_f32 v[6:7], v[6:7], v[106:107]                    // 000000005CC4: D3B14006 1802D506
	v_pk_mul_f32 v[4:5], v[4:5], s[60:61]                      // 000000005CCC: D3B14004 18007904
	v_pk_mul_f32 v[6:7], v[6:7], s[60:61]                      // 000000005CD4: D3B14006 18007906
	v_exp_f32_e32 v4, v4                                       // 000000005CDC: 7E084104
	v_exp_f32_e32 v5, v5                                       // 000000005CE0: 7E0A4105
	v_exp_f32_e32 v6, v6                                       // 000000005CE4: 7E0C4106
	v_exp_f32_e32 v7, v7                                       // 000000005CE8: 7E0E4107
	v_add_f32_e64 v4, v4, 1.0                                  // 000000005CEC: D1010004 0001E504
	v_add_f32_e64 v5, v5, 1.0                                  // 000000005CF4: D1010005 0001E505
	v_add_f32_e64 v6, v6, 1.0                                  // 000000005CFC: D1010006 0001E506
	v_add_f32_e64 v7, v7, 1.0                                  // 000000005D04: D1010007 0001E507
	v_rcp_f32_e32 v4, v4                                       // 000000005D0C: 7E084504
	v_rcp_f32_e32 v5, v5                                       // 000000005D10: 7E0A4505
	v_rcp_f32_e32 v6, v6                                       // 000000005D14: 7E0C4506
	v_rcp_f32_e32 v7, v7                                       // 000000005D18: 7E0E4507
	v_mul_f32_e32 v104, v104, v4                               // 000000005D1C: 0AD00968
	v_mul_f32_e32 v105, v105, v5                               // 000000005D20: 0AD20B69
	v_mul_f32_e32 v106, v106, v6                               // 000000005D24: 0AD40D6A
	v_mul_f32_e32 v107, v107, v7                               // 000000005D28: 0AD60F6B
	v_mul_f32_e32 v104, v104, v144                             // 000000005D2C: 0AD12168
	v_mul_f32_e32 v105, v105, v145                             // 000000005D30: 0AD32369
	v_mul_f32_e32 v106, v106, v146                             // 000000005D34: 0AD5256A
	v_mul_f32_e32 v107, v107, v147                             // 000000005D38: 0AD7276B
	v_pk_mul_f32 v[4:5], v[108:109], v[108:109]                // 000000005D3C: D3B14004 1802D96C
	v_pk_mul_f32 v[6:7], v[110:111], v[110:111]                // 000000005D44: D3B14006 1802DD6E
	v_pk_fma_f32 v[4:5], v[4:5], s[78:79], v[8:9]              // 000000005D4C: D3B04004 1C209D04
	v_pk_fma_f32 v[6:7], v[6:7], s[78:79], v[8:9]              // 000000005D54: D3B04006 1C209D06
	v_pk_mul_f32 v[4:5], v[4:5], v[108:109]                    // 000000005D5C: D3B14004 1802D904
	v_pk_mul_f32 v[6:7], v[6:7], v[110:111]                    // 000000005D64: D3B14006 1802DD06
	v_pk_mul_f32 v[4:5], v[4:5], s[60:61]                      // 000000005D6C: D3B14004 18007904
	v_pk_mul_f32 v[6:7], v[6:7], s[60:61]                      // 000000005D74: D3B14006 18007906
	v_exp_f32_e32 v4, v4                                       // 000000005D7C: 7E084104
	v_exp_f32_e32 v5, v5                                       // 000000005D80: 7E0A4105
	v_exp_f32_e32 v6, v6                                       // 000000005D84: 7E0C4106
	v_exp_f32_e32 v7, v7                                       // 000000005D88: 7E0E4107
	v_add_f32_e64 v4, v4, 1.0                                  // 000000005D8C: D1010004 0001E504
	v_add_f32_e64 v5, v5, 1.0                                  // 000000005D94: D1010005 0001E505
	v_add_f32_e64 v6, v6, 1.0                                  // 000000005D9C: D1010006 0001E506
	v_add_f32_e64 v7, v7, 1.0                                  // 000000005DA4: D1010007 0001E507
	v_rcp_f32_e32 v4, v4                                       // 000000005DAC: 7E084504
	v_rcp_f32_e32 v5, v5                                       // 000000005DB0: 7E0A4505
	v_rcp_f32_e32 v6, v6                                       // 000000005DB4: 7E0C4506
	v_rcp_f32_e32 v7, v7                                       // 000000005DB8: 7E0E4507
	v_mul_f32_e32 v108, v108, v4                               // 000000005DBC: 0AD8096C
	v_mul_f32_e32 v109, v109, v5                               // 000000005DC0: 0ADA0B6D
	v_mul_f32_e32 v110, v110, v6                               // 000000005DC4: 0ADC0D6E
	v_mul_f32_e32 v111, v111, v7                               // 000000005DC8: 0ADE0F6F
	v_mul_f32_e32 v108, v108, v148                             // 000000005DCC: 0AD9296C
	v_mul_f32_e32 v109, v109, v149                             // 000000005DD0: 0ADB2B6D
	v_mul_f32_e32 v110, v110, v150                             // 000000005DD4: 0ADD2D6E
	v_mul_f32_e32 v111, v111, v151                             // 000000005DD8: 0ADF2F6F
	v_pk_mul_f32 v[4:5], v[112:113], v[112:113]                // 000000005DDC: D3B14004 1802E170
	v_pk_mul_f32 v[6:7], v[114:115], v[114:115]                // 000000005DE4: D3B14006 1802E572
	v_pk_fma_f32 v[4:5], v[4:5], s[78:79], v[8:9]              // 000000005DEC: D3B04004 1C209D04
	v_pk_fma_f32 v[6:7], v[6:7], s[78:79], v[8:9]              // 000000005DF4: D3B04006 1C209D06
	v_pk_mul_f32 v[4:5], v[4:5], v[112:113]                    // 000000005DFC: D3B14004 1802E104
	v_pk_mul_f32 v[6:7], v[6:7], v[114:115]                    // 000000005E04: D3B14006 1802E506
	v_pk_mul_f32 v[4:5], v[4:5], s[60:61]                      // 000000005E0C: D3B14004 18007904
	v_pk_mul_f32 v[6:7], v[6:7], s[60:61]                      // 000000005E14: D3B14006 18007906
	v_exp_f32_e32 v4, v4                                       // 000000005E1C: 7E084104
	v_exp_f32_e32 v5, v5                                       // 000000005E20: 7E0A4105
	v_exp_f32_e32 v6, v6                                       // 000000005E24: 7E0C4106
	v_exp_f32_e32 v7, v7                                       // 000000005E28: 7E0E4107
	v_add_f32_e64 v4, v4, 1.0                                  // 000000005E2C: D1010004 0001E504
	v_add_f32_e64 v5, v5, 1.0                                  // 000000005E34: D1010005 0001E505
	v_add_f32_e64 v6, v6, 1.0                                  // 000000005E3C: D1010006 0001E506
	v_add_f32_e64 v7, v7, 1.0                                  // 000000005E44: D1010007 0001E507
	v_rcp_f32_e32 v4, v4                                       // 000000005E4C: 7E084504
	v_rcp_f32_e32 v5, v5                                       // 000000005E50: 7E0A4505
	v_rcp_f32_e32 v6, v6                                       // 000000005E54: 7E0C4506
	v_rcp_f32_e32 v7, v7                                       // 000000005E58: 7E0E4507
	v_mul_f32_e32 v112, v112, v4                               // 000000005E5C: 0AE00970
	v_mul_f32_e32 v113, v113, v5                               // 000000005E60: 0AE20B71
	v_mul_f32_e32 v114, v114, v6                               // 000000005E64: 0AE40D72
	v_mul_f32_e32 v115, v115, v7                               // 000000005E68: 0AE60F73
	v_mul_f32_e32 v112, v112, v152                             // 000000005E6C: 0AE13170
	v_mul_f32_e32 v113, v113, v153                             // 000000005E70: 0AE33371
	v_mul_f32_e32 v114, v114, v154                             // 000000005E74: 0AE53572
	v_mul_f32_e32 v115, v115, v155                             // 000000005E78: 0AE73773
	v_pk_mul_f32 v[4:5], v[116:117], v[116:117]                // 000000005E7C: D3B14004 1802E974
	v_pk_mul_f32 v[6:7], v[118:119], v[118:119]                // 000000005E84: D3B14006 1802ED76
	v_pk_fma_f32 v[4:5], v[4:5], s[78:79], v[8:9]              // 000000005E8C: D3B04004 1C209D04
	v_pk_fma_f32 v[6:7], v[6:7], s[78:79], v[8:9]              // 000000005E94: D3B04006 1C209D06
	v_pk_mul_f32 v[4:5], v[4:5], v[116:117]                    // 000000005E9C: D3B14004 1802E904
	v_pk_mul_f32 v[6:7], v[6:7], v[118:119]                    // 000000005EA4: D3B14006 1802ED06
	v_pk_mul_f32 v[4:5], v[4:5], s[60:61]                      // 000000005EAC: D3B14004 18007904
	v_pk_mul_f32 v[6:7], v[6:7], s[60:61]                      // 000000005EB4: D3B14006 18007906
	v_exp_f32_e32 v4, v4                                       // 000000005EBC: 7E084104
	v_exp_f32_e32 v5, v5                                       // 000000005EC0: 7E0A4105
	v_exp_f32_e32 v6, v6                                       // 000000005EC4: 7E0C4106
	v_exp_f32_e32 v7, v7                                       // 000000005EC8: 7E0E4107
	v_add_f32_e64 v4, v4, 1.0                                  // 000000005ECC: D1010004 0001E504
	v_add_f32_e64 v5, v5, 1.0                                  // 000000005ED4: D1010005 0001E505
	v_add_f32_e64 v6, v6, 1.0                                  // 000000005EDC: D1010006 0001E506
	v_add_f32_e64 v7, v7, 1.0                                  // 000000005EE4: D1010007 0001E507
	v_rcp_f32_e32 v4, v4                                       // 000000005EEC: 7E084504
	v_rcp_f32_e32 v5, v5                                       // 000000005EF0: 7E0A4505
	v_rcp_f32_e32 v6, v6                                       // 000000005EF4: 7E0C4506
	v_rcp_f32_e32 v7, v7                                       // 000000005EF8: 7E0E4507
	v_mul_f32_e32 v116, v116, v4                               // 000000005EFC: 0AE80974
	v_mul_f32_e32 v117, v117, v5                               // 000000005F00: 0AEA0B75
	v_mul_f32_e32 v118, v118, v6                               // 000000005F04: 0AEC0D76
	v_mul_f32_e32 v119, v119, v7                               // 000000005F08: 0AEE0F77
	v_mul_f32_e32 v116, v116, v156                             // 000000005F0C: 0AE93974
	v_mul_f32_e32 v117, v117, v157                             // 000000005F10: 0AEB3B75
	v_mul_f32_e32 v118, v118, v158                             // 000000005F14: 0AED3D76
	v_mul_f32_e32 v119, v119, v159                             // 000000005F18: 0AEF3F77
	v_pk_mul_f32 v[4:5], v[120:121], v[120:121]                // 000000005F1C: D3B14004 1802F178
	v_pk_mul_f32 v[6:7], v[122:123], v[122:123]                // 000000005F24: D3B14006 1802F57A
	v_pk_fma_f32 v[4:5], v[4:5], s[78:79], v[8:9]              // 000000005F2C: D3B04004 1C209D04
	v_pk_fma_f32 v[6:7], v[6:7], s[78:79], v[8:9]              // 000000005F34: D3B04006 1C209D06
	v_pk_mul_f32 v[4:5], v[4:5], v[120:121]                    // 000000005F3C: D3B14004 1802F104
	v_pk_mul_f32 v[6:7], v[6:7], v[122:123]                    // 000000005F44: D3B14006 1802F506
	v_pk_mul_f32 v[4:5], v[4:5], s[60:61]                      // 000000005F4C: D3B14004 18007904
	v_pk_mul_f32 v[6:7], v[6:7], s[60:61]                      // 000000005F54: D3B14006 18007906
	v_exp_f32_e32 v4, v4                                       // 000000005F5C: 7E084104
	v_exp_f32_e32 v5, v5                                       // 000000005F60: 7E0A4105
	v_exp_f32_e32 v6, v6                                       // 000000005F64: 7E0C4106
	v_exp_f32_e32 v7, v7                                       // 000000005F68: 7E0E4107
	v_add_f32_e64 v4, v4, 1.0                                  // 000000005F6C: D1010004 0001E504
	v_add_f32_e64 v5, v5, 1.0                                  // 000000005F74: D1010005 0001E505
	v_add_f32_e64 v6, v6, 1.0                                  // 000000005F7C: D1010006 0001E506
	v_add_f32_e64 v7, v7, 1.0                                  // 000000005F84: D1010007 0001E507
	v_rcp_f32_e32 v4, v4                                       // 000000005F8C: 7E084504
	v_rcp_f32_e32 v5, v5                                       // 000000005F90: 7E0A4505
	v_rcp_f32_e32 v6, v6                                       // 000000005F94: 7E0C4506
	v_rcp_f32_e32 v7, v7                                       // 000000005F98: 7E0E4507
	v_mul_f32_e32 v120, v120, v4                               // 000000005F9C: 0AF00978
	v_mul_f32_e32 v121, v121, v5                               // 000000005FA0: 0AF20B79
	v_mul_f32_e32 v122, v122, v6                               // 000000005FA4: 0AF40D7A
	v_mul_f32_e32 v123, v123, v7                               // 000000005FA8: 0AF60F7B
	v_mul_f32_e32 v120, v120, v160                             // 000000005FAC: 0AF14178
	v_mul_f32_e32 v121, v121, v161                             // 000000005FB0: 0AF34379
	v_mul_f32_e32 v122, v122, v162                             // 000000005FB4: 0AF5457A
	v_mul_f32_e32 v123, v123, v163                             // 000000005FB8: 0AF7477B
	v_pk_mul_f32 v[4:5], v[124:125], v[124:125]                // 000000005FBC: D3B14004 1802F97C
	v_pk_mul_f32 v[6:7], v[126:127], v[126:127]                // 000000005FC4: D3B14006 1802FD7E
	v_pk_fma_f32 v[4:5], v[4:5], s[78:79], v[8:9]              // 000000005FCC: D3B04004 1C209D04
	v_pk_fma_f32 v[6:7], v[6:7], s[78:79], v[8:9]              // 000000005FD4: D3B04006 1C209D06
	v_pk_mul_f32 v[4:5], v[4:5], v[124:125]                    // 000000005FDC: D3B14004 1802F904
	v_pk_mul_f32 v[6:7], v[6:7], v[126:127]                    // 000000005FE4: D3B14006 1802FD06
	v_pk_mul_f32 v[4:5], v[4:5], s[60:61]                      // 000000005FEC: D3B14004 18007904
	v_pk_mul_f32 v[6:7], v[6:7], s[60:61]                      // 000000005FF4: D3B14006 18007906
	v_exp_f32_e32 v4, v4                                       // 000000005FFC: 7E084104
	v_exp_f32_e32 v5, v5                                       // 000000006000: 7E0A4105
	v_exp_f32_e32 v6, v6                                       // 000000006004: 7E0C4106
	v_exp_f32_e32 v7, v7                                       // 000000006008: 7E0E4107
	v_add_f32_e64 v4, v4, 1.0                                  // 00000000600C: D1010004 0001E504
	v_add_f32_e64 v5, v5, 1.0                                  // 000000006014: D1010005 0001E505
	v_add_f32_e64 v6, v6, 1.0                                  // 00000000601C: D1010006 0001E506
	v_add_f32_e64 v7, v7, 1.0                                  // 000000006024: D1010007 0001E507
	v_rcp_f32_e32 v4, v4                                       // 00000000602C: 7E084504
	v_rcp_f32_e32 v5, v5                                       // 000000006030: 7E0A4505
	v_rcp_f32_e32 v6, v6                                       // 000000006034: 7E0C4506
	v_rcp_f32_e32 v7, v7                                       // 000000006038: 7E0E4507
	v_mul_f32_e32 v124, v124, v4                               // 00000000603C: 0AF8097C
	v_mul_f32_e32 v125, v125, v5                               // 000000006040: 0AFA0B7D
	v_mul_f32_e32 v126, v126, v6                               // 000000006044: 0AFC0D7E
	v_mul_f32_e32 v127, v127, v7                               // 000000006048: 0AFE0F7F
	v_mul_f32_e32 v124, v124, v164                             // 00000000604C: 0AF9497C
	v_mul_f32_e32 v125, v125, v165                             // 000000006050: 0AFB4B7D
	v_mul_f32_e32 v126, v126, v166                             // 000000006054: 0AFD4D7E
	v_mul_f32_e32 v127, v127, v167                             // 000000006058: 0AFF4F7F
	v_pk_mul_f32 v[4:5], v[128:129], v[128:129]                // 00000000605C: D3B14004 18030180
	v_pk_mul_f32 v[6:7], v[130:131], v[130:131]                // 000000006064: D3B14006 18030582
	v_pk_fma_f32 v[4:5], v[4:5], s[78:79], v[8:9]              // 00000000606C: D3B04004 1C209D04
	v_pk_fma_f32 v[6:7], v[6:7], s[78:79], v[8:9]              // 000000006074: D3B04006 1C209D06
	v_pk_mul_f32 v[4:5], v[4:5], v[128:129]                    // 00000000607C: D3B14004 18030104
	v_pk_mul_f32 v[6:7], v[6:7], v[130:131]                    // 000000006084: D3B14006 18030506
	v_pk_mul_f32 v[4:5], v[4:5], s[60:61]                      // 00000000608C: D3B14004 18007904
	v_pk_mul_f32 v[6:7], v[6:7], s[60:61]                      // 000000006094: D3B14006 18007906
	v_exp_f32_e32 v4, v4                                       // 00000000609C: 7E084104
	v_exp_f32_e32 v5, v5                                       // 0000000060A0: 7E0A4105
	v_exp_f32_e32 v6, v6                                       // 0000000060A4: 7E0C4106
	v_exp_f32_e32 v7, v7                                       // 0000000060A8: 7E0E4107
	v_add_f32_e64 v4, v4, 1.0                                  // 0000000060AC: D1010004 0001E504
	v_add_f32_e64 v5, v5, 1.0                                  // 0000000060B4: D1010005 0001E505
	v_add_f32_e64 v6, v6, 1.0                                  // 0000000060BC: D1010006 0001E506
	v_add_f32_e64 v7, v7, 1.0                                  // 0000000060C4: D1010007 0001E507
	v_rcp_f32_e32 v4, v4                                       // 0000000060CC: 7E084504
	v_rcp_f32_e32 v5, v5                                       // 0000000060D0: 7E0A4505
	v_rcp_f32_e32 v6, v6                                       // 0000000060D4: 7E0C4506
	v_rcp_f32_e32 v7, v7                                       // 0000000060D8: 7E0E4507
	v_mul_f32_e32 v128, v128, v4                               // 0000000060DC: 0B000980
	v_mul_f32_e32 v129, v129, v5                               // 0000000060E0: 0B020B81
	v_mul_f32_e32 v130, v130, v6                               // 0000000060E4: 0B040D82
	v_mul_f32_e32 v131, v131, v7                               // 0000000060E8: 0B060F83
	v_mul_f32_e32 v128, v128, v168                             // 0000000060EC: 0B015180
	v_mul_f32_e32 v129, v129, v169                             // 0000000060F0: 0B035381
	v_mul_f32_e32 v130, v130, v170                             // 0000000060F4: 0B055582
	v_mul_f32_e32 v131, v131, v171                             // 0000000060F8: 0B075783
	s_branch label_0F00                                        // 0000000060FC: BF820140

0000000000006100 <label_0DC0>:
	v_mul_f32_e64 v4, -v92, s6                                 // 000000006100: D1050004 20000D5C
	v_mul_f32_e64 v5, -v93, s6                                 // 000000006108: D1050005 20000D5D
	v_mul_f32_e64 v6, -v94, s6                                 // 000000006110: D1050006 20000D5E
	v_mul_f32_e64 v7, -v95, s6                                 // 000000006118: D1050007 20000D5F
	v_exp_f32_e32 v4, v4                                       // 000000006120: 7E084104
	v_exp_f32_e32 v5, v5                                       // 000000006124: 7E0A4105
	v_exp_f32_e32 v6, v6                                       // 000000006128: 7E0C4106
	v_exp_f32_e32 v7, v7                                       // 00000000612C: 7E0E4107
	v_add_f32_e64 v4, v4, 1.0                                  // 000000006130: D1010004 0001E504
	v_add_f32_e64 v5, v5, 1.0                                  // 000000006138: D1010005 0001E505
	v_add_f32_e64 v6, v6, 1.0                                  // 000000006140: D1010006 0001E506
	v_add_f32_e64 v7, v7, 1.0                                  // 000000006148: D1010007 0001E507
	v_rcp_f32_e32 v4, v4                                       // 000000006150: 7E084504
	v_rcp_f32_e32 v5, v5                                       // 000000006154: 7E0A4505
	v_rcp_f32_e32 v6, v6                                       // 000000006158: 7E0C4506
	v_rcp_f32_e32 v7, v7                                       // 00000000615C: 7E0E4507
	v_mul_f32_e32 v92, v92, v4                                 // 000000006160: 0AB8095C
	v_mul_f32_e32 v93, v93, v5                                 // 000000006164: 0ABA0B5D
	v_mul_f32_e32 v94, v94, v6                                 // 000000006168: 0ABC0D5E
	v_mul_f32_e32 v95, v95, v7                                 // 00000000616C: 0ABE0F5F
	v_mul_f32_e32 v92, v92, v132                               // 000000006170: 0AB9095C
	v_mul_f32_e32 v93, v93, v133                               // 000000006174: 0ABB0B5D
	v_mul_f32_e32 v94, v94, v134                               // 000000006178: 0ABD0D5E
	v_mul_f32_e32 v95, v95, v135                               // 00000000617C: 0ABF0F5F
	v_mul_f32_e64 v4, -v96, s6                                 // 000000006180: D1050004 20000D60
	v_mul_f32_e64 v5, -v97, s6                                 // 000000006188: D1050005 20000D61
	v_mul_f32_e64 v6, -v98, s6                                 // 000000006190: D1050006 20000D62
	v_mul_f32_e64 v7, -v99, s6                                 // 000000006198: D1050007 20000D63
	v_exp_f32_e32 v4, v4                                       // 0000000061A0: 7E084104
	v_exp_f32_e32 v5, v5                                       // 0000000061A4: 7E0A4105
	v_exp_f32_e32 v6, v6                                       // 0000000061A8: 7E0C4106
	v_exp_f32_e32 v7, v7                                       // 0000000061AC: 7E0E4107
	v_add_f32_e64 v4, v4, 1.0                                  // 0000000061B0: D1010004 0001E504
	v_add_f32_e64 v5, v5, 1.0                                  // 0000000061B8: D1010005 0001E505
	v_add_f32_e64 v6, v6, 1.0                                  // 0000000061C0: D1010006 0001E506
	v_add_f32_e64 v7, v7, 1.0                                  // 0000000061C8: D1010007 0001E507
	v_rcp_f32_e32 v4, v4                                       // 0000000061D0: 7E084504
	v_rcp_f32_e32 v5, v5                                       // 0000000061D4: 7E0A4505
	v_rcp_f32_e32 v6, v6                                       // 0000000061D8: 7E0C4506
	v_rcp_f32_e32 v7, v7                                       // 0000000061DC: 7E0E4507
	v_mul_f32_e32 v96, v96, v4                                 // 0000000061E0: 0AC00960
	v_mul_f32_e32 v97, v97, v5                                 // 0000000061E4: 0AC20B61
	v_mul_f32_e32 v98, v98, v6                                 // 0000000061E8: 0AC40D62
	v_mul_f32_e32 v99, v99, v7                                 // 0000000061EC: 0AC60F63
	v_mul_f32_e32 v96, v96, v136                               // 0000000061F0: 0AC11160
	v_mul_f32_e32 v97, v97, v137                               // 0000000061F4: 0AC31361
	v_mul_f32_e32 v98, v98, v138                               // 0000000061F8: 0AC51562
	v_mul_f32_e32 v99, v99, v139                               // 0000000061FC: 0AC71763
	v_mul_f32_e64 v4, -v100, s6                                // 000000006200: D1050004 20000D64
	v_mul_f32_e64 v5, -v101, s6                                // 000000006208: D1050005 20000D65
	v_mul_f32_e64 v6, -v102, s6                                // 000000006210: D1050006 20000D66
	v_mul_f32_e64 v7, -v103, s6                                // 000000006218: D1050007 20000D67
	v_exp_f32_e32 v4, v4                                       // 000000006220: 7E084104
	v_exp_f32_e32 v5, v5                                       // 000000006224: 7E0A4105
	v_exp_f32_e32 v6, v6                                       // 000000006228: 7E0C4106
	v_exp_f32_e32 v7, v7                                       // 00000000622C: 7E0E4107
	v_add_f32_e64 v4, v4, 1.0                                  // 000000006230: D1010004 0001E504
	v_add_f32_e64 v5, v5, 1.0                                  // 000000006238: D1010005 0001E505
	v_add_f32_e64 v6, v6, 1.0                                  // 000000006240: D1010006 0001E506
	v_add_f32_e64 v7, v7, 1.0                                  // 000000006248: D1010007 0001E507
	v_rcp_f32_e32 v4, v4                                       // 000000006250: 7E084504
	v_rcp_f32_e32 v5, v5                                       // 000000006254: 7E0A4505
	v_rcp_f32_e32 v6, v6                                       // 000000006258: 7E0C4506
	v_rcp_f32_e32 v7, v7                                       // 00000000625C: 7E0E4507
	v_mul_f32_e32 v100, v100, v4                               // 000000006260: 0AC80964
	v_mul_f32_e32 v101, v101, v5                               // 000000006264: 0ACA0B65
	v_mul_f32_e32 v102, v102, v6                               // 000000006268: 0ACC0D66
	v_mul_f32_e32 v103, v103, v7                               // 00000000626C: 0ACE0F67
	v_mul_f32_e32 v100, v100, v140                             // 000000006270: 0AC91964
	v_mul_f32_e32 v101, v101, v141                             // 000000006274: 0ACB1B65
	v_mul_f32_e32 v102, v102, v142                             // 000000006278: 0ACD1D66
	v_mul_f32_e32 v103, v103, v143                             // 00000000627C: 0ACF1F67
	v_mul_f32_e64 v4, -v104, s6                                // 000000006280: D1050004 20000D68
	v_mul_f32_e64 v5, -v105, s6                                // 000000006288: D1050005 20000D69
	v_mul_f32_e64 v6, -v106, s6                                // 000000006290: D1050006 20000D6A
	v_mul_f32_e64 v7, -v107, s6                                // 000000006298: D1050007 20000D6B
	v_exp_f32_e32 v4, v4                                       // 0000000062A0: 7E084104
	v_exp_f32_e32 v5, v5                                       // 0000000062A4: 7E0A4105
	v_exp_f32_e32 v6, v6                                       // 0000000062A8: 7E0C4106
	v_exp_f32_e32 v7, v7                                       // 0000000062AC: 7E0E4107
	v_add_f32_e64 v4, v4, 1.0                                  // 0000000062B0: D1010004 0001E504
	v_add_f32_e64 v5, v5, 1.0                                  // 0000000062B8: D1010005 0001E505
	v_add_f32_e64 v6, v6, 1.0                                  // 0000000062C0: D1010006 0001E506
	v_add_f32_e64 v7, v7, 1.0                                  // 0000000062C8: D1010007 0001E507
	v_rcp_f32_e32 v4, v4                                       // 0000000062D0: 7E084504
	v_rcp_f32_e32 v5, v5                                       // 0000000062D4: 7E0A4505
	v_rcp_f32_e32 v6, v6                                       // 0000000062D8: 7E0C4506
	v_rcp_f32_e32 v7, v7                                       // 0000000062DC: 7E0E4507
	v_mul_f32_e32 v104, v104, v4                               // 0000000062E0: 0AD00968
	v_mul_f32_e32 v105, v105, v5                               // 0000000062E4: 0AD20B69
	v_mul_f32_e32 v106, v106, v6                               // 0000000062E8: 0AD40D6A
	v_mul_f32_e32 v107, v107, v7                               // 0000000062EC: 0AD60F6B
	v_mul_f32_e32 v104, v104, v144                             // 0000000062F0: 0AD12168
	v_mul_f32_e32 v105, v105, v145                             // 0000000062F4: 0AD32369
	v_mul_f32_e32 v106, v106, v146                             // 0000000062F8: 0AD5256A
	v_mul_f32_e32 v107, v107, v147                             // 0000000062FC: 0AD7276B
	v_mul_f32_e64 v4, -v108, s6                                // 000000006300: D1050004 20000D6C
	v_mul_f32_e64 v5, -v109, s6                                // 000000006308: D1050005 20000D6D
	v_mul_f32_e64 v6, -v110, s6                                // 000000006310: D1050006 20000D6E
	v_mul_f32_e64 v7, -v111, s6                                // 000000006318: D1050007 20000D6F
	v_exp_f32_e32 v4, v4                                       // 000000006320: 7E084104
	v_exp_f32_e32 v5, v5                                       // 000000006324: 7E0A4105
	v_exp_f32_e32 v6, v6                                       // 000000006328: 7E0C4106
	v_exp_f32_e32 v7, v7                                       // 00000000632C: 7E0E4107
	v_add_f32_e64 v4, v4, 1.0                                  // 000000006330: D1010004 0001E504
	v_add_f32_e64 v5, v5, 1.0                                  // 000000006338: D1010005 0001E505
	v_add_f32_e64 v6, v6, 1.0                                  // 000000006340: D1010006 0001E506
	v_add_f32_e64 v7, v7, 1.0                                  // 000000006348: D1010007 0001E507
	v_rcp_f32_e32 v4, v4                                       // 000000006350: 7E084504
	v_rcp_f32_e32 v5, v5                                       // 000000006354: 7E0A4505
	v_rcp_f32_e32 v6, v6                                       // 000000006358: 7E0C4506
	v_rcp_f32_e32 v7, v7                                       // 00000000635C: 7E0E4507
	v_mul_f32_e32 v108, v108, v4                               // 000000006360: 0AD8096C
	v_mul_f32_e32 v109, v109, v5                               // 000000006364: 0ADA0B6D
	v_mul_f32_e32 v110, v110, v6                               // 000000006368: 0ADC0D6E
	v_mul_f32_e32 v111, v111, v7                               // 00000000636C: 0ADE0F6F
	v_mul_f32_e32 v108, v108, v148                             // 000000006370: 0AD9296C
	v_mul_f32_e32 v109, v109, v149                             // 000000006374: 0ADB2B6D
	v_mul_f32_e32 v110, v110, v150                             // 000000006378: 0ADD2D6E
	v_mul_f32_e32 v111, v111, v151                             // 00000000637C: 0ADF2F6F
	v_mul_f32_e64 v4, -v112, s6                                // 000000006380: D1050004 20000D70
	v_mul_f32_e64 v5, -v113, s6                                // 000000006388: D1050005 20000D71
	v_mul_f32_e64 v6, -v114, s6                                // 000000006390: D1050006 20000D72
	v_mul_f32_e64 v7, -v115, s6                                // 000000006398: D1050007 20000D73
	v_exp_f32_e32 v4, v4                                       // 0000000063A0: 7E084104
	v_exp_f32_e32 v5, v5                                       // 0000000063A4: 7E0A4105
	v_exp_f32_e32 v6, v6                                       // 0000000063A8: 7E0C4106
	v_exp_f32_e32 v7, v7                                       // 0000000063AC: 7E0E4107
	v_add_f32_e64 v4, v4, 1.0                                  // 0000000063B0: D1010004 0001E504
	v_add_f32_e64 v5, v5, 1.0                                  // 0000000063B8: D1010005 0001E505
	v_add_f32_e64 v6, v6, 1.0                                  // 0000000063C0: D1010006 0001E506
	v_add_f32_e64 v7, v7, 1.0                                  // 0000000063C8: D1010007 0001E507
	v_rcp_f32_e32 v4, v4                                       // 0000000063D0: 7E084504
	v_rcp_f32_e32 v5, v5                                       // 0000000063D4: 7E0A4505
	v_rcp_f32_e32 v6, v6                                       // 0000000063D8: 7E0C4506
	v_rcp_f32_e32 v7, v7                                       // 0000000063DC: 7E0E4507
	v_mul_f32_e32 v112, v112, v4                               // 0000000063E0: 0AE00970
	v_mul_f32_e32 v113, v113, v5                               // 0000000063E4: 0AE20B71
	v_mul_f32_e32 v114, v114, v6                               // 0000000063E8: 0AE40D72
	v_mul_f32_e32 v115, v115, v7                               // 0000000063EC: 0AE60F73
	v_mul_f32_e32 v112, v112, v152                             // 0000000063F0: 0AE13170
	v_mul_f32_e32 v113, v113, v153                             // 0000000063F4: 0AE33371
	v_mul_f32_e32 v114, v114, v154                             // 0000000063F8: 0AE53572
	v_mul_f32_e32 v115, v115, v155                             // 0000000063FC: 0AE73773
	v_mul_f32_e64 v4, -v116, s6                                // 000000006400: D1050004 20000D74
	v_mul_f32_e64 v5, -v117, s6                                // 000000006408: D1050005 20000D75
	v_mul_f32_e64 v6, -v118, s6                                // 000000006410: D1050006 20000D76
	v_mul_f32_e64 v7, -v119, s6                                // 000000006418: D1050007 20000D77
	v_exp_f32_e32 v4, v4                                       // 000000006420: 7E084104
	v_exp_f32_e32 v5, v5                                       // 000000006424: 7E0A4105
	v_exp_f32_e32 v6, v6                                       // 000000006428: 7E0C4106
	v_exp_f32_e32 v7, v7                                       // 00000000642C: 7E0E4107
	v_add_f32_e64 v4, v4, 1.0                                  // 000000006430: D1010004 0001E504
	v_add_f32_e64 v5, v5, 1.0                                  // 000000006438: D1010005 0001E505
	v_add_f32_e64 v6, v6, 1.0                                  // 000000006440: D1010006 0001E506
	v_add_f32_e64 v7, v7, 1.0                                  // 000000006448: D1010007 0001E507
	v_rcp_f32_e32 v4, v4                                       // 000000006450: 7E084504
	v_rcp_f32_e32 v5, v5                                       // 000000006454: 7E0A4505
	v_rcp_f32_e32 v6, v6                                       // 000000006458: 7E0C4506
	v_rcp_f32_e32 v7, v7                                       // 00000000645C: 7E0E4507
	v_mul_f32_e32 v116, v116, v4                               // 000000006460: 0AE80974
	v_mul_f32_e32 v117, v117, v5                               // 000000006464: 0AEA0B75
	v_mul_f32_e32 v118, v118, v6                               // 000000006468: 0AEC0D76
	v_mul_f32_e32 v119, v119, v7                               // 00000000646C: 0AEE0F77
	v_mul_f32_e32 v116, v116, v156                             // 000000006470: 0AE93974
	v_mul_f32_e32 v117, v117, v157                             // 000000006474: 0AEB3B75
	v_mul_f32_e32 v118, v118, v158                             // 000000006478: 0AED3D76
	v_mul_f32_e32 v119, v119, v159                             // 00000000647C: 0AEF3F77
	v_mul_f32_e64 v4, -v120, s6                                // 000000006480: D1050004 20000D78
	v_mul_f32_e64 v5, -v121, s6                                // 000000006488: D1050005 20000D79
	v_mul_f32_e64 v6, -v122, s6                                // 000000006490: D1050006 20000D7A
	v_mul_f32_e64 v7, -v123, s6                                // 000000006498: D1050007 20000D7B
	v_exp_f32_e32 v4, v4                                       // 0000000064A0: 7E084104
	v_exp_f32_e32 v5, v5                                       // 0000000064A4: 7E0A4105
	v_exp_f32_e32 v6, v6                                       // 0000000064A8: 7E0C4106
	v_exp_f32_e32 v7, v7                                       // 0000000064AC: 7E0E4107
	v_add_f32_e64 v4, v4, 1.0                                  // 0000000064B0: D1010004 0001E504
	v_add_f32_e64 v5, v5, 1.0                                  // 0000000064B8: D1010005 0001E505
	v_add_f32_e64 v6, v6, 1.0                                  // 0000000064C0: D1010006 0001E506
	v_add_f32_e64 v7, v7, 1.0                                  // 0000000064C8: D1010007 0001E507
	v_rcp_f32_e32 v4, v4                                       // 0000000064D0: 7E084504
	v_rcp_f32_e32 v5, v5                                       // 0000000064D4: 7E0A4505
	v_rcp_f32_e32 v6, v6                                       // 0000000064D8: 7E0C4506
	v_rcp_f32_e32 v7, v7                                       // 0000000064DC: 7E0E4507
	v_mul_f32_e32 v120, v120, v4                               // 0000000064E0: 0AF00978
	v_mul_f32_e32 v121, v121, v5                               // 0000000064E4: 0AF20B79
	v_mul_f32_e32 v122, v122, v6                               // 0000000064E8: 0AF40D7A
	v_mul_f32_e32 v123, v123, v7                               // 0000000064EC: 0AF60F7B
	v_mul_f32_e32 v120, v120, v160                             // 0000000064F0: 0AF14178
	v_mul_f32_e32 v121, v121, v161                             // 0000000064F4: 0AF34379
	v_mul_f32_e32 v122, v122, v162                             // 0000000064F8: 0AF5457A
	v_mul_f32_e32 v123, v123, v163                             // 0000000064FC: 0AF7477B
	v_mul_f32_e64 v4, -v124, s6                                // 000000006500: D1050004 20000D7C
	v_mul_f32_e64 v5, -v125, s6                                // 000000006508: D1050005 20000D7D
	v_mul_f32_e64 v6, -v126, s6                                // 000000006510: D1050006 20000D7E
	v_mul_f32_e64 v7, -v127, s6                                // 000000006518: D1050007 20000D7F
	v_exp_f32_e32 v4, v4                                       // 000000006520: 7E084104
	v_exp_f32_e32 v5, v5                                       // 000000006524: 7E0A4105
	v_exp_f32_e32 v6, v6                                       // 000000006528: 7E0C4106
	v_exp_f32_e32 v7, v7                                       // 00000000652C: 7E0E4107
	v_add_f32_e64 v4, v4, 1.0                                  // 000000006530: D1010004 0001E504
	v_add_f32_e64 v5, v5, 1.0                                  // 000000006538: D1010005 0001E505
	v_add_f32_e64 v6, v6, 1.0                                  // 000000006540: D1010006 0001E506
	v_add_f32_e64 v7, v7, 1.0                                  // 000000006548: D1010007 0001E507
	v_rcp_f32_e32 v4, v4                                       // 000000006550: 7E084504
	v_rcp_f32_e32 v5, v5                                       // 000000006554: 7E0A4505
	v_rcp_f32_e32 v6, v6                                       // 000000006558: 7E0C4506
	v_rcp_f32_e32 v7, v7                                       // 00000000655C: 7E0E4507
	v_mul_f32_e32 v124, v124, v4                               // 000000006560: 0AF8097C
	v_mul_f32_e32 v125, v125, v5                               // 000000006564: 0AFA0B7D
	v_mul_f32_e32 v126, v126, v6                               // 000000006568: 0AFC0D7E
	v_mul_f32_e32 v127, v127, v7                               // 00000000656C: 0AFE0F7F
	v_mul_f32_e32 v124, v124, v164                             // 000000006570: 0AF9497C
	v_mul_f32_e32 v125, v125, v165                             // 000000006574: 0AFB4B7D
	v_mul_f32_e32 v126, v126, v166                             // 000000006578: 0AFD4D7E
	v_mul_f32_e32 v127, v127, v167                             // 00000000657C: 0AFF4F7F
	v_mul_f32_e64 v4, -v128, s6                                // 000000006580: D1050004 20000D80
	v_mul_f32_e64 v5, -v129, s6                                // 000000006588: D1050005 20000D81
	v_mul_f32_e64 v6, -v130, s6                                // 000000006590: D1050006 20000D82
	v_mul_f32_e64 v7, -v131, s6                                // 000000006598: D1050007 20000D83
	v_exp_f32_e32 v4, v4                                       // 0000000065A0: 7E084104
	v_exp_f32_e32 v5, v5                                       // 0000000065A4: 7E0A4105
	v_exp_f32_e32 v6, v6                                       // 0000000065A8: 7E0C4106
	v_exp_f32_e32 v7, v7                                       // 0000000065AC: 7E0E4107
	v_add_f32_e64 v4, v4, 1.0                                  // 0000000065B0: D1010004 0001E504
	v_add_f32_e64 v5, v5, 1.0                                  // 0000000065B8: D1010005 0001E505
	v_add_f32_e64 v6, v6, 1.0                                  // 0000000065C0: D1010006 0001E506
	v_add_f32_e64 v7, v7, 1.0                                  // 0000000065C8: D1010007 0001E507
	v_rcp_f32_e32 v4, v4                                       // 0000000065D0: 7E084504
	v_rcp_f32_e32 v5, v5                                       // 0000000065D4: 7E0A4505
	v_rcp_f32_e32 v6, v6                                       // 0000000065D8: 7E0C4506
	v_rcp_f32_e32 v7, v7                                       // 0000000065DC: 7E0E4507
	v_mul_f32_e32 v128, v128, v4                               // 0000000065E0: 0B000980
	v_mul_f32_e32 v129, v129, v5                               // 0000000065E4: 0B020B81
	v_mul_f32_e32 v130, v130, v6                               // 0000000065E8: 0B040D82
	v_mul_f32_e32 v131, v131, v7                               // 0000000065EC: 0B060F83
	v_mul_f32_e32 v128, v128, v168                             // 0000000065F0: 0B015180
	v_mul_f32_e32 v129, v129, v169                             // 0000000065F4: 0B035381
	v_mul_f32_e32 v130, v130, v170                             // 0000000065F8: 0B055582
	v_mul_f32_e32 v131, v131, v171                             // 0000000065FC: 0B075783

0000000000006600 <label_0F00>:
	v_cmp_u_f32_e64 s[46:47], v92, v92                         // 000000006600: D048002E 0002B95C
	v_add3_u32 v16, v92, v19, 1                                // 000000006608: D1FF0010 0206275C
	v_cndmask_b32_e64 v4, v16, v18, s[46:47]                   // 000000006610: D1000004 00BA2510
	v_cmp_u_f32_e64 s[46:47], v93, v93                         // 000000006618: D048002E 0002BB5D
	v_add3_u32 v16, v93, v19, 1                                // 000000006620: D1FF0010 0206275D
	v_cndmask_b32_e64 v5, v16, v18, s[46:47]                   // 000000006628: D1000005 00BA2510
	v_perm_b32 v92, v5, v4, s52                                // 000000006630: D1ED005C 00D20905
	v_cmp_u_f32_e64 s[46:47], v94, v94                         // 000000006638: D048002E 0002BD5E
	v_add3_u32 v16, v94, v19, 1                                // 000000006640: D1FF0010 0206275E
	v_cndmask_b32_e64 v4, v16, v18, s[46:47]                   // 000000006648: D1000004 00BA2510
	v_cmp_u_f32_e64 s[46:47], v95, v95                         // 000000006650: D048002E 0002BF5F
	v_add3_u32 v16, v95, v19, 1                                // 000000006658: D1FF0010 0206275F
	v_cndmask_b32_e64 v5, v16, v18, s[46:47]                   // 000000006660: D1000005 00BA2510
	v_perm_b32 v93, v5, v4, s52                                // 000000006668: D1ED005D 00D20905
	v_cmp_u_f32_e64 s[46:47], v96, v96                         // 000000006670: D048002E 0002C160
	v_add3_u32 v16, v96, v19, 1                                // 000000006678: D1FF0010 02062760
	v_cndmask_b32_e64 v4, v16, v18, s[46:47]                   // 000000006680: D1000004 00BA2510
	v_cmp_u_f32_e64 s[46:47], v97, v97                         // 000000006688: D048002E 0002C361
	v_add3_u32 v16, v97, v19, 1                                // 000000006690: D1FF0010 02062761
	v_cndmask_b32_e64 v5, v16, v18, s[46:47]                   // 000000006698: D1000005 00BA2510
	v_perm_b32 v94, v5, v4, s52                                // 0000000066A0: D1ED005E 00D20905
	v_cmp_u_f32_e64 s[46:47], v98, v98                         // 0000000066A8: D048002E 0002C562
	v_add3_u32 v16, v98, v19, 1                                // 0000000066B0: D1FF0010 02062762
	v_cndmask_b32_e64 v4, v16, v18, s[46:47]                   // 0000000066B8: D1000004 00BA2510
	v_cmp_u_f32_e64 s[46:47], v99, v99                         // 0000000066C0: D048002E 0002C763
	v_add3_u32 v16, v99, v19, 1                                // 0000000066C8: D1FF0010 02062763
	v_cndmask_b32_e64 v5, v16, v18, s[46:47]                   // 0000000066D0: D1000005 00BA2510
	v_perm_b32 v95, v5, v4, s52                                // 0000000066D8: D1ED005F 00D20905
	v_cmp_u_f32_e64 s[46:47], v100, v100                       // 0000000066E0: D048002E 0002C964
	v_add3_u32 v16, v100, v19, 1                               // 0000000066E8: D1FF0010 02062764
	v_cndmask_b32_e64 v4, v16, v18, s[46:47]                   // 0000000066F0: D1000004 00BA2510
	v_cmp_u_f32_e64 s[46:47], v101, v101                       // 0000000066F8: D048002E 0002CB65
	v_add3_u32 v16, v101, v19, 1                               // 000000006700: D1FF0010 02062765
	v_cndmask_b32_e64 v5, v16, v18, s[46:47]                   // 000000006708: D1000005 00BA2510
	v_perm_b32 v96, v5, v4, s52                                // 000000006710: D1ED0060 00D20905
	v_cmp_u_f32_e64 s[46:47], v102, v102                       // 000000006718: D048002E 0002CD66
	v_add3_u32 v16, v102, v19, 1                               // 000000006720: D1FF0010 02062766
	v_cndmask_b32_e64 v4, v16, v18, s[46:47]                   // 000000006728: D1000004 00BA2510
	v_cmp_u_f32_e64 s[46:47], v103, v103                       // 000000006730: D048002E 0002CF67
	v_add3_u32 v16, v103, v19, 1                               // 000000006738: D1FF0010 02062767
	v_cndmask_b32_e64 v5, v16, v18, s[46:47]                   // 000000006740: D1000005 00BA2510
	v_perm_b32 v97, v5, v4, s52                                // 000000006748: D1ED0061 00D20905
	v_cmp_u_f32_e64 s[46:47], v104, v104                       // 000000006750: D048002E 0002D168
	v_add3_u32 v16, v104, v19, 1                               // 000000006758: D1FF0010 02062768
	v_cndmask_b32_e64 v4, v16, v18, s[46:47]                   // 000000006760: D1000004 00BA2510
	v_cmp_u_f32_e64 s[46:47], v105, v105                       // 000000006768: D048002E 0002D369
	v_add3_u32 v16, v105, v19, 1                               // 000000006770: D1FF0010 02062769
	v_cndmask_b32_e64 v5, v16, v18, s[46:47]                   // 000000006778: D1000005 00BA2510
	v_perm_b32 v98, v5, v4, s52                                // 000000006780: D1ED0062 00D20905
	v_cmp_u_f32_e64 s[46:47], v106, v106                       // 000000006788: D048002E 0002D56A
	v_add3_u32 v16, v106, v19, 1                               // 000000006790: D1FF0010 0206276A
	v_cndmask_b32_e64 v4, v16, v18, s[46:47]                   // 000000006798: D1000004 00BA2510
	v_cmp_u_f32_e64 s[46:47], v107, v107                       // 0000000067A0: D048002E 0002D76B
	v_add3_u32 v16, v107, v19, 1                               // 0000000067A8: D1FF0010 0206276B
	v_cndmask_b32_e64 v5, v16, v18, s[46:47]                   // 0000000067B0: D1000005 00BA2510
	v_perm_b32 v99, v5, v4, s52                                // 0000000067B8: D1ED0063 00D20905
	v_cmp_u_f32_e64 s[46:47], v108, v108                       // 0000000067C0: D048002E 0002D96C
	v_add3_u32 v16, v108, v19, 1                               // 0000000067C8: D1FF0010 0206276C
	v_cndmask_b32_e64 v4, v16, v18, s[46:47]                   // 0000000067D0: D1000004 00BA2510
	v_cmp_u_f32_e64 s[46:47], v109, v109                       // 0000000067D8: D048002E 0002DB6D
	v_add3_u32 v16, v109, v19, 1                               // 0000000067E0: D1FF0010 0206276D
	v_cndmask_b32_e64 v5, v16, v18, s[46:47]                   // 0000000067E8: D1000005 00BA2510
	v_perm_b32 v100, v5, v4, s52                               // 0000000067F0: D1ED0064 00D20905
	v_cmp_u_f32_e64 s[46:47], v110, v110                       // 0000000067F8: D048002E 0002DD6E
	v_add3_u32 v16, v110, v19, 1                               // 000000006800: D1FF0010 0206276E
	v_cndmask_b32_e64 v4, v16, v18, s[46:47]                   // 000000006808: D1000004 00BA2510
	v_cmp_u_f32_e64 s[46:47], v111, v111                       // 000000006810: D048002E 0002DF6F
	v_add3_u32 v16, v111, v19, 1                               // 000000006818: D1FF0010 0206276F
	v_cndmask_b32_e64 v5, v16, v18, s[46:47]                   // 000000006820: D1000005 00BA2510
	v_perm_b32 v101, v5, v4, s52                               // 000000006828: D1ED0065 00D20905
	v_cmp_u_f32_e64 s[46:47], v112, v112                       // 000000006830: D048002E 0002E170
	v_add3_u32 v16, v112, v19, 1                               // 000000006838: D1FF0010 02062770
	v_cndmask_b32_e64 v4, v16, v18, s[46:47]                   // 000000006840: D1000004 00BA2510
	v_cmp_u_f32_e64 s[46:47], v113, v113                       // 000000006848: D048002E 0002E371
	v_add3_u32 v16, v113, v19, 1                               // 000000006850: D1FF0010 02062771
	v_cndmask_b32_e64 v5, v16, v18, s[46:47]                   // 000000006858: D1000005 00BA2510
	v_perm_b32 v102, v5, v4, s52                               // 000000006860: D1ED0066 00D20905
	v_cmp_u_f32_e64 s[46:47], v114, v114                       // 000000006868: D048002E 0002E572
	v_add3_u32 v16, v114, v19, 1                               // 000000006870: D1FF0010 02062772
	v_cndmask_b32_e64 v4, v16, v18, s[46:47]                   // 000000006878: D1000004 00BA2510
	v_cmp_u_f32_e64 s[46:47], v115, v115                       // 000000006880: D048002E 0002E773
	v_add3_u32 v16, v115, v19, 1                               // 000000006888: D1FF0010 02062773
	v_cndmask_b32_e64 v5, v16, v18, s[46:47]                   // 000000006890: D1000005 00BA2510
	v_perm_b32 v103, v5, v4, s52                               // 000000006898: D1ED0067 00D20905
	v_cmp_u_f32_e64 s[46:47], v116, v116                       // 0000000068A0: D048002E 0002E974
	v_add3_u32 v16, v116, v19, 1                               // 0000000068A8: D1FF0010 02062774
	v_cndmask_b32_e64 v4, v16, v18, s[46:47]                   // 0000000068B0: D1000004 00BA2510
	v_cmp_u_f32_e64 s[46:47], v117, v117                       // 0000000068B8: D048002E 0002EB75
	v_add3_u32 v16, v117, v19, 1                               // 0000000068C0: D1FF0010 02062775
	v_cndmask_b32_e64 v5, v16, v18, s[46:47]                   // 0000000068C8: D1000005 00BA2510
	v_perm_b32 v104, v5, v4, s52                               // 0000000068D0: D1ED0068 00D20905
	v_cmp_u_f32_e64 s[46:47], v118, v118                       // 0000000068D8: D048002E 0002ED76
	v_add3_u32 v16, v118, v19, 1                               // 0000000068E0: D1FF0010 02062776
	v_cndmask_b32_e64 v4, v16, v18, s[46:47]                   // 0000000068E8: D1000004 00BA2510
	v_cmp_u_f32_e64 s[46:47], v119, v119                       // 0000000068F0: D048002E 0002EF77
	v_add3_u32 v16, v119, v19, 1                               // 0000000068F8: D1FF0010 02062777
	v_cndmask_b32_e64 v5, v16, v18, s[46:47]                   // 000000006900: D1000005 00BA2510
	v_perm_b32 v105, v5, v4, s52                               // 000000006908: D1ED0069 00D20905
	v_cmp_u_f32_e64 s[46:47], v120, v120                       // 000000006910: D048002E 0002F178
	v_add3_u32 v16, v120, v19, 1                               // 000000006918: D1FF0010 02062778
	v_cndmask_b32_e64 v4, v16, v18, s[46:47]                   // 000000006920: D1000004 00BA2510
	v_cmp_u_f32_e64 s[46:47], v121, v121                       // 000000006928: D048002E 0002F379
	v_add3_u32 v16, v121, v19, 1                               // 000000006930: D1FF0010 02062779
	v_cndmask_b32_e64 v5, v16, v18, s[46:47]                   // 000000006938: D1000005 00BA2510
	v_perm_b32 v106, v5, v4, s52                               // 000000006940: D1ED006A 00D20905
	v_cmp_u_f32_e64 s[46:47], v122, v122                       // 000000006948: D048002E 0002F57A
	v_add3_u32 v16, v122, v19, 1                               // 000000006950: D1FF0010 0206277A
	v_cndmask_b32_e64 v4, v16, v18, s[46:47]                   // 000000006958: D1000004 00BA2510
	v_cmp_u_f32_e64 s[46:47], v123, v123                       // 000000006960: D048002E 0002F77B
	v_add3_u32 v16, v123, v19, 1                               // 000000006968: D1FF0010 0206277B
	v_cndmask_b32_e64 v5, v16, v18, s[46:47]                   // 000000006970: D1000005 00BA2510
	v_perm_b32 v107, v5, v4, s52                               // 000000006978: D1ED006B 00D20905
	v_cmp_u_f32_e64 s[46:47], v124, v124                       // 000000006980: D048002E 0002F97C
	v_add3_u32 v16, v124, v19, 1                               // 000000006988: D1FF0010 0206277C
	v_cndmask_b32_e64 v4, v16, v18, s[46:47]                   // 000000006990: D1000004 00BA2510
	v_cmp_u_f32_e64 s[46:47], v125, v125                       // 000000006998: D048002E 0002FB7D
	v_add3_u32 v16, v125, v19, 1                               // 0000000069A0: D1FF0010 0206277D
	v_cndmask_b32_e64 v5, v16, v18, s[46:47]                   // 0000000069A8: D1000005 00BA2510
	v_perm_b32 v108, v5, v4, s52                               // 0000000069B0: D1ED006C 00D20905
	v_cmp_u_f32_e64 s[46:47], v126, v126                       // 0000000069B8: D048002E 0002FD7E
	v_add3_u32 v16, v126, v19, 1                               // 0000000069C0: D1FF0010 0206277E
	v_cndmask_b32_e64 v4, v16, v18, s[46:47]                   // 0000000069C8: D1000004 00BA2510
	v_cmp_u_f32_e64 s[46:47], v127, v127                       // 0000000069D0: D048002E 0002FF7F
	v_add3_u32 v16, v127, v19, 1                               // 0000000069D8: D1FF0010 0206277F
	v_cndmask_b32_e64 v5, v16, v18, s[46:47]                   // 0000000069E0: D1000005 00BA2510
	v_perm_b32 v109, v5, v4, s52                               // 0000000069E8: D1ED006D 00D20905
	v_cmp_u_f32_e64 s[46:47], v128, v128                       // 0000000069F0: D048002E 00030180
	v_add3_u32 v16, v128, v19, 1                               // 0000000069F8: D1FF0010 02062780
	v_cndmask_b32_e64 v4, v16, v18, s[46:47]                   // 000000006A00: D1000004 00BA2510
	v_cmp_u_f32_e64 s[46:47], v129, v129                       // 000000006A08: D048002E 00030381
	v_add3_u32 v16, v129, v19, 1                               // 000000006A10: D1FF0010 02062781
	v_cndmask_b32_e64 v5, v16, v18, s[46:47]                   // 000000006A18: D1000005 00BA2510
	v_perm_b32 v110, v5, v4, s52                               // 000000006A20: D1ED006E 00D20905
	v_cmp_u_f32_e64 s[46:47], v130, v130                       // 000000006A28: D048002E 00030582
	v_add3_u32 v16, v130, v19, 1                               // 000000006A30: D1FF0010 02062782
	v_cndmask_b32_e64 v4, v16, v18, s[46:47]                   // 000000006A38: D1000004 00BA2510
	v_cmp_u_f32_e64 s[46:47], v131, v131                       // 000000006A40: D048002E 00030783
	v_add3_u32 v16, v131, v19, 1                               // 000000006A48: D1FF0010 02062783
	v_cndmask_b32_e64 v5, v16, v18, s[46:47]                   // 000000006A50: D1000005 00BA2510
	v_perm_b32 v111, v5, v4, s52                               // 000000006A58: D1ED006F 00D20905
	ds_write_b64 v20, v[92:93]                                 // 000000006A60: D89A0000 00005C14
	ds_write_b64 v20, v[94:95] offset:2176                     // 000000006A68: D89A0880 00005E14
	ds_write_b64 v20, v[96:97] offset:4352                     // 000000006A70: D89A1100 00006014
	ds_write_b64 v20, v[98:99] offset:6528                     // 000000006A78: D89A1980 00006214
	ds_write_b64 v20, v[100:101] offset:8704                   // 000000006A80: D89A2200 00006414
	ds_write_b64 v20, v[102:103] offset:10880                  // 000000006A88: D89A2A80 00006614
	ds_write_b64 v20, v[104:105] offset:13056                  // 000000006A90: D89A3300 00006814
	ds_write_b64 v20, v[106:107] offset:15232                  // 000000006A98: D89A3B80 00006A14
	ds_write_b64 v20, v[108:109] offset:17408                  // 000000006AA0: D89A4400 00006C14
	ds_write_b64 v20, v[110:111] offset:19584                  // 000000006AA8: D89A4C80 00006E14
	v_lshrrev_b32_e32 v4, 5, v0                                // 000000006AB0: 20080085
	v_xor_b32_e32 v5, 1, v4                                    // 000000006AB4: 2A0A0881
	s_mul_i32 s60, s65, 2                                      // 000000006AB8: 923C8241
	s_cmp_eq_u32 s88, 0                                        // 000000006ABC: BF068058
	s_cselect_b32 s61, 1, 4                                    // 000000006AC0: 853D8481
	s_mul_i32 s60, s61, s60                                    // 000000006AC4: 923C3C3D
	v_readlane_b32 s82, v3, 0                                  // 000000006AC8: D2890052 00010103
	s_lshr_b32 s61, s82, 24                                    // 000000006AD0: 8F3D9852
	s_and_b32 s82, s82, 0xffffff                               // 000000006AD4: 8652FF52 00FFFFFF
	s_mul_i32 s82, s82, s71                                    // 000000006ADC: 92524752
	s_mul_i32 s61, s60, s61                                    // 000000006AE0: 923D3D3C
	s_add_u32 s82, s82, s61                                    // 000000006AE4: 80523D52
	v_mul_lo_u32 v6, v5, s82                                   // 000000006AE8: D2850006 0000A505
	v_readlane_b32 s82, v3, 1                                  // 000000006AF0: D2890052 00010303
	s_lshr_b32 s61, s82, 24                                    // 000000006AF8: 8F3D9852
	s_and_b32 s82, s82, 0xffffff                               // 000000006AFC: 8652FF52 00FFFFFF
	s_mul_i32 s82, s82, s71                                    // 000000006B04: 92524752
	s_mul_i32 s61, s60, s61                                    // 000000006B08: 923D3D3C
	s_add_u32 s82, s82, s61                                    // 000000006B0C: 80523D52
	v_mul_lo_u32 v7, v4, s82                                   // 000000006B10: D2850007 0000A504
	v_add_u32_e32 v70, v6, v7                                  // 000000006B18: 688C0F06
	v_readlane_b32 s82, v3, 2                                  // 000000006B1C: D2890052 00010503
	s_lshr_b32 s61, s82, 24                                    // 000000006B24: 8F3D9852
	s_and_b32 s82, s82, 0xffffff                               // 000000006B28: 8652FF52 00FFFFFF
	s_mul_i32 s82, s82, s71                                    // 000000006B30: 92524752
	s_mul_i32 s61, s60, s61                                    // 000000006B34: 923D3D3C
	s_add_u32 s82, s82, s61                                    // 000000006B38: 80523D52
	v_mul_lo_u32 v6, v5, s82                                   // 000000006B3C: D2850006 0000A505
	v_readlane_b32 s82, v3, 3                                  // 000000006B44: D2890052 00010703
	s_lshr_b32 s61, s82, 24                                    // 000000006B4C: 8F3D9852
	s_and_b32 s82, s82, 0xffffff                               // 000000006B50: 8652FF52 00FFFFFF
	s_mul_i32 s82, s82, s71                                    // 000000006B58: 92524752
	s_mul_i32 s61, s60, s61                                    // 000000006B5C: 923D3D3C
	s_add_u32 s82, s82, s61                                    // 000000006B60: 80523D52
	v_mul_lo_u32 v7, v4, s82                                   // 000000006B64: D2850007 0000A504
	v_add_u32_e32 v71, v6, v7                                  // 000000006B6C: 688E0F06
	v_readlane_b32 s82, v3, 4                                  // 000000006B70: D2890052 00010903
	s_lshr_b32 s61, s82, 24                                    // 000000006B78: 8F3D9852
	s_and_b32 s82, s82, 0xffffff                               // 000000006B7C: 8652FF52 00FFFFFF
	s_mul_i32 s82, s82, s71                                    // 000000006B84: 92524752
	s_mul_i32 s61, s60, s61                                    // 000000006B88: 923D3D3C
	s_add_u32 s82, s82, s61                                    // 000000006B8C: 80523D52
	v_mul_lo_u32 v6, v5, s82                                   // 000000006B90: D2850006 0000A505
	v_readlane_b32 s82, v3, 5                                  // 000000006B98: D2890052 00010B03
	s_lshr_b32 s61, s82, 24                                    // 000000006BA0: 8F3D9852
	s_and_b32 s82, s82, 0xffffff                               // 000000006BA4: 8652FF52 00FFFFFF
	s_mul_i32 s82, s82, s71                                    // 000000006BAC: 92524752
	s_mul_i32 s61, s60, s61                                    // 000000006BB0: 923D3D3C
	s_add_u32 s82, s82, s61                                    // 000000006BB4: 80523D52
	v_mul_lo_u32 v7, v4, s82                                   // 000000006BB8: D2850007 0000A504
	v_add_u32_e32 v72, v6, v7                                  // 000000006BC0: 68900F06
	v_readlane_b32 s82, v3, 6                                  // 000000006BC4: D2890052 00010D03
	s_lshr_b32 s61, s82, 24                                    // 000000006BCC: 8F3D9852
	s_and_b32 s82, s82, 0xffffff                               // 000000006BD0: 8652FF52 00FFFFFF
	s_mul_i32 s82, s82, s71                                    // 000000006BD8: 92524752
	s_mul_i32 s61, s60, s61                                    // 000000006BDC: 923D3D3C
	s_add_u32 s82, s82, s61                                    // 000000006BE0: 80523D52
	v_mul_lo_u32 v6, v5, s82                                   // 000000006BE4: D2850006 0000A505
	v_readlane_b32 s82, v3, 7                                  // 000000006BEC: D2890052 00010F03
	s_lshr_b32 s61, s82, 24                                    // 000000006BF4: 8F3D9852
	s_and_b32 s82, s82, 0xffffff                               // 000000006BF8: 8652FF52 00FFFFFF
	s_mul_i32 s82, s82, s71                                    // 000000006C00: 92524752
	s_mul_i32 s61, s60, s61                                    // 000000006C04: 923D3D3C
	s_add_u32 s82, s82, s61                                    // 000000006C08: 80523D52
	v_mul_lo_u32 v7, v4, s82                                   // 000000006C0C: D2850007 0000A504
	v_add_u32_e32 v73, v6, v7                                  // 000000006C14: 68920F06
	v_readlane_b32 s82, v3, 8                                  // 000000006C18: D2890052 00011103
	s_lshr_b32 s61, s82, 24                                    // 000000006C20: 8F3D9852
	s_and_b32 s82, s82, 0xffffff                               // 000000006C24: 8652FF52 00FFFFFF
	s_mul_i32 s82, s82, s71                                    // 000000006C2C: 92524752
	s_mul_i32 s61, s60, s61                                    // 000000006C30: 923D3D3C
	s_add_u32 s82, s82, s61                                    // 000000006C34: 80523D52
	v_mul_lo_u32 v6, v5, s82                                   // 000000006C38: D2850006 0000A505
	v_readlane_b32 s82, v3, 9                                  // 000000006C40: D2890052 00011303
	s_lshr_b32 s61, s82, 24                                    // 000000006C48: 8F3D9852
	s_and_b32 s82, s82, 0xffffff                               // 000000006C4C: 8652FF52 00FFFFFF
	s_mul_i32 s82, s82, s71                                    // 000000006C54: 92524752
	s_mul_i32 s61, s60, s61                                    // 000000006C58: 923D3D3C
	s_add_u32 s82, s82, s61                                    // 000000006C5C: 80523D52
	v_mul_lo_u32 v7, v4, s82                                   // 000000006C60: D2850007 0000A504
	v_add_u32_e32 v74, v6, v7                                  // 000000006C68: 68940F06
	v_readlane_b32 s82, v3, 10                                 // 000000006C6C: D2890052 00011503
	s_lshr_b32 s61, s82, 24                                    // 000000006C74: 8F3D9852
	s_and_b32 s82, s82, 0xffffff                               // 000000006C78: 8652FF52 00FFFFFF
	s_mul_i32 s82, s82, s71                                    // 000000006C80: 92524752
	s_mul_i32 s61, s60, s61                                    // 000000006C84: 923D3D3C
	s_add_u32 s82, s82, s61                                    // 000000006C88: 80523D52
	v_mul_lo_u32 v6, v5, s82                                   // 000000006C8C: D2850006 0000A505
	v_readlane_b32 s82, v3, 11                                 // 000000006C94: D2890052 00011703
	s_lshr_b32 s61, s82, 24                                    // 000000006C9C: 8F3D9852
	s_and_b32 s82, s82, 0xffffff                               // 000000006CA0: 8652FF52 00FFFFFF
	s_mul_i32 s82, s82, s71                                    // 000000006CA8: 92524752
	s_mul_i32 s61, s60, s61                                    // 000000006CAC: 923D3D3C
	s_add_u32 s82, s82, s61                                    // 000000006CB0: 80523D52
	v_mul_lo_u32 v7, v4, s82                                   // 000000006CB4: D2850007 0000A504
	v_add_u32_e32 v75, v6, v7                                  // 000000006CBC: 68960F06
	v_readlane_b32 s82, v3, 12                                 // 000000006CC0: D2890052 00011903
	s_lshr_b32 s61, s82, 24                                    // 000000006CC8: 8F3D9852
	s_and_b32 s82, s82, 0xffffff                               // 000000006CCC: 8652FF52 00FFFFFF
	s_mul_i32 s82, s82, s71                                    // 000000006CD4: 92524752
	s_mul_i32 s61, s60, s61                                    // 000000006CD8: 923D3D3C
	s_add_u32 s82, s82, s61                                    // 000000006CDC: 80523D52
	v_mul_lo_u32 v6, v5, s82                                   // 000000006CE0: D2850006 0000A505
	v_readlane_b32 s82, v3, 13                                 // 000000006CE8: D2890052 00011B03
	s_lshr_b32 s61, s82, 24                                    // 000000006CF0: 8F3D9852
	s_and_b32 s82, s82, 0xffffff                               // 000000006CF4: 8652FF52 00FFFFFF
	s_mul_i32 s82, s82, s71                                    // 000000006CFC: 92524752
	s_mul_i32 s61, s60, s61                                    // 000000006D00: 923D3D3C
	s_add_u32 s82, s82, s61                                    // 000000006D04: 80523D52
	v_mul_lo_u32 v7, v4, s82                                   // 000000006D08: D2850007 0000A504
	v_add_u32_e32 v76, v6, v7                                  // 000000006D10: 68980F06
	v_readlane_b32 s82, v3, 14                                 // 000000006D14: D2890052 00011D03
	s_lshr_b32 s61, s82, 24                                    // 000000006D1C: 8F3D9852
	s_and_b32 s82, s82, 0xffffff                               // 000000006D20: 8652FF52 00FFFFFF
	s_mul_i32 s82, s82, s71                                    // 000000006D28: 92524752
	s_mul_i32 s61, s60, s61                                    // 000000006D2C: 923D3D3C
	s_add_u32 s82, s82, s61                                    // 000000006D30: 80523D52
	v_mul_lo_u32 v6, v5, s82                                   // 000000006D34: D2850006 0000A505
	v_readlane_b32 s82, v3, 15                                 // 000000006D3C: D2890052 00011F03
	s_lshr_b32 s61, s82, 24                                    // 000000006D44: 8F3D9852
	s_and_b32 s82, s82, 0xffffff                               // 000000006D48: 8652FF52 00FFFFFF
	s_mul_i32 s82, s82, s71                                    // 000000006D50: 92524752
	s_mul_i32 s61, s60, s61                                    // 000000006D54: 923D3D3C
	s_add_u32 s82, s82, s61                                    // 000000006D58: 80523D52
	v_mul_lo_u32 v7, v4, s82                                   // 000000006D5C: D2850007 0000A504
	v_add_u32_e32 v77, v6, v7                                  // 000000006D64: 689A0F06
	v_readlane_b32 s82, v3, 16                                 // 000000006D68: D2890052 00012103
	s_lshr_b32 s61, s82, 24                                    // 000000006D70: 8F3D9852
	s_and_b32 s82, s82, 0xffffff                               // 000000006D74: 8652FF52 00FFFFFF
	s_mul_i32 s82, s82, s71                                    // 000000006D7C: 92524752
	s_mul_i32 s61, s60, s61                                    // 000000006D80: 923D3D3C
	s_add_u32 s82, s82, s61                                    // 000000006D84: 80523D52
	v_mul_lo_u32 v6, v5, s82                                   // 000000006D88: D2850006 0000A505
	v_readlane_b32 s82, v3, 17                                 // 000000006D90: D2890052 00012303
	s_lshr_b32 s61, s82, 24                                    // 000000006D98: 8F3D9852
	s_and_b32 s82, s82, 0xffffff                               // 000000006D9C: 8652FF52 00FFFFFF
	s_mul_i32 s82, s82, s71                                    // 000000006DA4: 92524752
	s_mul_i32 s61, s60, s61                                    // 000000006DA8: 923D3D3C
	s_add_u32 s82, s82, s61                                    // 000000006DAC: 80523D52
	v_mul_lo_u32 v7, v4, s82                                   // 000000006DB0: D2850007 0000A504
	v_add_u32_e32 v78, v6, v7                                  // 000000006DB8: 689C0F06
	v_readlane_b32 s82, v3, 18                                 // 000000006DBC: D2890052 00012503
	s_lshr_b32 s61, s82, 24                                    // 000000006DC4: 8F3D9852
	s_and_b32 s82, s82, 0xffffff                               // 000000006DC8: 8652FF52 00FFFFFF
	s_mul_i32 s82, s82, s71                                    // 000000006DD0: 92524752
	s_mul_i32 s61, s60, s61                                    // 000000006DD4: 923D3D3C
	s_add_u32 s82, s82, s61                                    // 000000006DD8: 80523D52
	v_mul_lo_u32 v6, v5, s82                                   // 000000006DDC: D2850006 0000A505
	v_readlane_b32 s82, v3, 19                                 // 000000006DE4: D2890052 00012703
	s_lshr_b32 s61, s82, 24                                    // 000000006DEC: 8F3D9852
	s_and_b32 s82, s82, 0xffffff                               // 000000006DF0: 8652FF52 00FFFFFF
	s_mul_i32 s82, s82, s71                                    // 000000006DF8: 92524752
	s_mul_i32 s61, s60, s61                                    // 000000006DFC: 923D3D3C
	s_add_u32 s82, s82, s61                                    // 000000006E00: 80523D52
	v_mul_lo_u32 v7, v4, s82                                   // 000000006E04: D2850007 0000A504
	v_add_u32_e32 v79, v6, v7                                  // 000000006E0C: 689E0F06
	v_readlane_b32 s82, v3, 20                                 // 000000006E10: D2890052 00012903
	s_lshr_b32 s61, s82, 24                                    // 000000006E18: 8F3D9852
	s_and_b32 s82, s82, 0xffffff                               // 000000006E1C: 8652FF52 00FFFFFF
	s_mul_i32 s82, s82, s71                                    // 000000006E24: 92524752
	s_mul_i32 s61, s60, s61                                    // 000000006E28: 923D3D3C
	s_add_u32 s82, s82, s61                                    // 000000006E2C: 80523D52
	v_mul_lo_u32 v6, v5, s82                                   // 000000006E30: D2850006 0000A505
	v_readlane_b32 s82, v3, 21                                 // 000000006E38: D2890052 00012B03
	s_lshr_b32 s61, s82, 24                                    // 000000006E40: 8F3D9852
	s_and_b32 s82, s82, 0xffffff                               // 000000006E44: 8652FF52 00FFFFFF
	s_mul_i32 s82, s82, s71                                    // 000000006E4C: 92524752
	s_mul_i32 s61, s60, s61                                    // 000000006E50: 923D3D3C
	s_add_u32 s82, s82, s61                                    // 000000006E54: 80523D52
	v_mul_lo_u32 v7, v4, s82                                   // 000000006E58: D2850007 0000A504
	v_add_u32_e32 v80, v6, v7                                  // 000000006E60: 68A00F06
	v_readlane_b32 s82, v3, 22                                 // 000000006E64: D2890052 00012D03
	s_lshr_b32 s61, s82, 24                                    // 000000006E6C: 8F3D9852
	s_and_b32 s82, s82, 0xffffff                               // 000000006E70: 8652FF52 00FFFFFF
	s_mul_i32 s82, s82, s71                                    // 000000006E78: 92524752
	s_mul_i32 s61, s60, s61                                    // 000000006E7C: 923D3D3C
	s_add_u32 s82, s82, s61                                    // 000000006E80: 80523D52
	v_mul_lo_u32 v6, v5, s82                                   // 000000006E84: D2850006 0000A505
	v_readlane_b32 s82, v3, 23                                 // 000000006E8C: D2890052 00012F03
	s_lshr_b32 s61, s82, 24                                    // 000000006E94: 8F3D9852
	s_and_b32 s82, s82, 0xffffff                               // 000000006E98: 8652FF52 00FFFFFF
	s_mul_i32 s82, s82, s71                                    // 000000006EA0: 92524752
	s_mul_i32 s61, s60, s61                                    // 000000006EA4: 923D3D3C
	s_add_u32 s82, s82, s61                                    // 000000006EA8: 80523D52
	v_mul_lo_u32 v7, v4, s82                                   // 000000006EAC: D2850007 0000A504
	v_add_u32_e32 v81, v6, v7                                  // 000000006EB4: 68A20F06
	v_readlane_b32 s82, v3, 24                                 // 000000006EB8: D2890052 00013103
	s_lshr_b32 s61, s82, 24                                    // 000000006EC0: 8F3D9852
	s_and_b32 s82, s82, 0xffffff                               // 000000006EC4: 8652FF52 00FFFFFF
	s_mul_i32 s82, s82, s71                                    // 000000006ECC: 92524752
	s_mul_i32 s61, s60, s61                                    // 000000006ED0: 923D3D3C
	s_add_u32 s82, s82, s61                                    // 000000006ED4: 80523D52
	v_mul_lo_u32 v6, v5, s82                                   // 000000006ED8: D2850006 0000A505
	v_readlane_b32 s82, v3, 25                                 // 000000006EE0: D2890052 00013303
	s_lshr_b32 s61, s82, 24                                    // 000000006EE8: 8F3D9852
	s_and_b32 s82, s82, 0xffffff                               // 000000006EEC: 8652FF52 00FFFFFF
	s_mul_i32 s82, s82, s71                                    // 000000006EF4: 92524752
	s_mul_i32 s61, s60, s61                                    // 000000006EF8: 923D3D3C
	s_add_u32 s82, s82, s61                                    // 000000006EFC: 80523D52
	v_mul_lo_u32 v7, v4, s82                                   // 000000006F00: D2850007 0000A504
	v_add_u32_e32 v82, v6, v7                                  // 000000006F08: 68A40F06
	v_readlane_b32 s82, v3, 26                                 // 000000006F0C: D2890052 00013503
	s_lshr_b32 s61, s82, 24                                    // 000000006F14: 8F3D9852
	s_and_b32 s82, s82, 0xffffff                               // 000000006F18: 8652FF52 00FFFFFF
	s_mul_i32 s82, s82, s71                                    // 000000006F20: 92524752
	s_mul_i32 s61, s60, s61                                    // 000000006F24: 923D3D3C
	s_add_u32 s82, s82, s61                                    // 000000006F28: 80523D52
	v_mul_lo_u32 v6, v5, s82                                   // 000000006F2C: D2850006 0000A505
	v_readlane_b32 s82, v3, 27                                 // 000000006F34: D2890052 00013703
	s_lshr_b32 s61, s82, 24                                    // 000000006F3C: 8F3D9852
	s_and_b32 s82, s82, 0xffffff                               // 000000006F40: 8652FF52 00FFFFFF
	s_mul_i32 s82, s82, s71                                    // 000000006F48: 92524752
	s_mul_i32 s61, s60, s61                                    // 000000006F4C: 923D3D3C
	s_add_u32 s82, s82, s61                                    // 000000006F50: 80523D52
	v_mul_lo_u32 v7, v4, s82                                   // 000000006F54: D2850007 0000A504
	v_add_u32_e32 v83, v6, v7                                  // 000000006F5C: 68A60F06
	v_readlane_b32 s82, v3, 28                                 // 000000006F60: D2890052 00013903
	s_lshr_b32 s61, s82, 24                                    // 000000006F68: 8F3D9852
	s_and_b32 s82, s82, 0xffffff                               // 000000006F6C: 8652FF52 00FFFFFF
	s_mul_i32 s82, s82, s71                                    // 000000006F74: 92524752
	s_mul_i32 s61, s60, s61                                    // 000000006F78: 923D3D3C
	s_add_u32 s82, s82, s61                                    // 000000006F7C: 80523D52
	v_mul_lo_u32 v6, v5, s82                                   // 000000006F80: D2850006 0000A505
	v_readlane_b32 s82, v3, 29                                 // 000000006F88: D2890052 00013B03
	s_lshr_b32 s61, s82, 24                                    // 000000006F90: 8F3D9852
	s_and_b32 s82, s82, 0xffffff                               // 000000006F94: 8652FF52 00FFFFFF
	s_mul_i32 s82, s82, s71                                    // 000000006F9C: 92524752
	s_mul_i32 s61, s60, s61                                    // 000000006FA0: 923D3D3C
	s_add_u32 s82, s82, s61                                    // 000000006FA4: 80523D52
	v_mul_lo_u32 v7, v4, s82                                   // 000000006FA8: D2850007 0000A504
	v_add_u32_e32 v84, v6, v7                                  // 000000006FB0: 68A80F06
	v_readlane_b32 s82, v3, 30                                 // 000000006FB4: D2890052 00013D03
	s_lshr_b32 s61, s82, 24                                    // 000000006FBC: 8F3D9852
	s_and_b32 s82, s82, 0xffffff                               // 000000006FC0: 8652FF52 00FFFFFF
	s_mul_i32 s82, s82, s71                                    // 000000006FC8: 92524752
	s_mul_i32 s61, s60, s61                                    // 000000006FCC: 923D3D3C
	s_add_u32 s82, s82, s61                                    // 000000006FD0: 80523D52
	v_mul_lo_u32 v6, v5, s82                                   // 000000006FD4: D2850006 0000A505
	v_readlane_b32 s82, v3, 31                                 // 000000006FDC: D2890052 00013F03
	s_lshr_b32 s61, s82, 24                                    // 000000006FE4: 8F3D9852
	s_and_b32 s82, s82, 0xffffff                               // 000000006FE8: 8652FF52 00FFFFFF
	s_mul_i32 s82, s82, s71                                    // 000000006FF0: 92524752
	s_mul_i32 s61, s60, s61                                    // 000000006FF4: 923D3D3C
	s_add_u32 s82, s82, s61                                    // 000000006FF8: 80523D52
	v_mul_lo_u32 v7, v4, s82                                   // 000000006FFC: D2850007 0000A504
	v_add_u32_e32 v85, v6, v7                                  // 000000007004: 68AA0F06
	v_readlane_b32 s82, v3, 32                                 // 000000007008: D2890052 00014103
	s_lshr_b32 s61, s82, 24                                    // 000000007010: 8F3D9852
	s_and_b32 s82, s82, 0xffffff                               // 000000007014: 8652FF52 00FFFFFF
	s_mul_i32 s82, s82, s71                                    // 00000000701C: 92524752
	s_mul_i32 s61, s60, s61                                    // 000000007020: 923D3D3C
	s_add_u32 s82, s82, s61                                    // 000000007024: 80523D52
	v_mul_lo_u32 v6, v5, s82                                   // 000000007028: D2850006 0000A505
	v_readlane_b32 s82, v3, 33                                 // 000000007030: D2890052 00014303
	s_lshr_b32 s61, s82, 24                                    // 000000007038: 8F3D9852
	s_and_b32 s82, s82, 0xffffff                               // 00000000703C: 8652FF52 00FFFFFF
	s_mul_i32 s82, s82, s71                                    // 000000007044: 92524752
	s_mul_i32 s61, s60, s61                                    // 000000007048: 923D3D3C
	s_add_u32 s82, s82, s61                                    // 00000000704C: 80523D52
	v_mul_lo_u32 v7, v4, s82                                   // 000000007050: D2850007 0000A504
	v_add_u32_e32 v86, v6, v7                                  // 000000007058: 68AC0F06
	v_readlane_b32 s82, v3, 34                                 // 00000000705C: D2890052 00014503
	s_lshr_b32 s61, s82, 24                                    // 000000007064: 8F3D9852
	s_and_b32 s82, s82, 0xffffff                               // 000000007068: 8652FF52 00FFFFFF
	s_mul_i32 s82, s82, s71                                    // 000000007070: 92524752
	s_mul_i32 s61, s60, s61                                    // 000000007074: 923D3D3C
	s_add_u32 s82, s82, s61                                    // 000000007078: 80523D52
	v_mul_lo_u32 v6, v5, s82                                   // 00000000707C: D2850006 0000A505
	v_readlane_b32 s82, v3, 35                                 // 000000007084: D2890052 00014703
	s_lshr_b32 s61, s82, 24                                    // 00000000708C: 8F3D9852
	s_and_b32 s82, s82, 0xffffff                               // 000000007090: 8652FF52 00FFFFFF
	s_mul_i32 s82, s82, s71                                    // 000000007098: 92524752
	s_mul_i32 s61, s60, s61                                    // 00000000709C: 923D3D3C
	s_add_u32 s82, s82, s61                                    // 0000000070A0: 80523D52
	v_mul_lo_u32 v7, v4, s82                                   // 0000000070A4: D2850007 0000A504
	v_add_u32_e32 v87, v6, v7                                  // 0000000070AC: 68AE0F06
	v_readlane_b32 s82, v3, 36                                 // 0000000070B0: D2890052 00014903
	s_lshr_b32 s61, s82, 24                                    // 0000000070B8: 8F3D9852
	s_and_b32 s82, s82, 0xffffff                               // 0000000070BC: 8652FF52 00FFFFFF
	s_mul_i32 s82, s82, s71                                    // 0000000070C4: 92524752
	s_mul_i32 s61, s60, s61                                    // 0000000070C8: 923D3D3C
	s_add_u32 s82, s82, s61                                    // 0000000070CC: 80523D52
	v_mul_lo_u32 v6, v5, s82                                   // 0000000070D0: D2850006 0000A505
	v_readlane_b32 s82, v3, 37                                 // 0000000070D8: D2890052 00014B03
	s_lshr_b32 s61, s82, 24                                    // 0000000070E0: 8F3D9852
	s_and_b32 s82, s82, 0xffffff                               // 0000000070E4: 8652FF52 00FFFFFF
	s_mul_i32 s82, s82, s71                                    // 0000000070EC: 92524752
	s_mul_i32 s61, s60, s61                                    // 0000000070F0: 923D3D3C
	s_add_u32 s82, s82, s61                                    // 0000000070F4: 80523D52
	v_mul_lo_u32 v7, v4, s82                                   // 0000000070F8: D2850007 0000A504
	v_add_u32_e32 v88, v6, v7                                  // 000000007100: 68B00F06
	v_readlane_b32 s82, v3, 38                                 // 000000007104: D2890052 00014D03
	s_lshr_b32 s61, s82, 24                                    // 00000000710C: 8F3D9852
	s_and_b32 s82, s82, 0xffffff                               // 000000007110: 8652FF52 00FFFFFF
	s_mul_i32 s82, s82, s71                                    // 000000007118: 92524752
	s_mul_i32 s61, s60, s61                                    // 00000000711C: 923D3D3C
	s_add_u32 s82, s82, s61                                    // 000000007120: 80523D52
	v_mul_lo_u32 v6, v5, s82                                   // 000000007124: D2850006 0000A505
	v_readlane_b32 s82, v3, 39                                 // 00000000712C: D2890052 00014F03
	s_lshr_b32 s61, s82, 24                                    // 000000007134: 8F3D9852
	s_and_b32 s82, s82, 0xffffff                               // 000000007138: 8652FF52 00FFFFFF
	s_mul_i32 s82, s82, s71                                    // 000000007140: 92524752
	s_mul_i32 s61, s60, s61                                    // 000000007144: 923D3D3C
	s_add_u32 s82, s82, s61                                    // 000000007148: 80523D52
	v_mul_lo_u32 v7, v4, s82                                   // 00000000714C: D2850007 0000A504
	v_add_u32_e32 v89, v6, v7                                  // 000000007154: 68B20F06
	v_and_b32_e32 v4, 31, v0                                   // 000000007158: 2608009F
	v_lshrrev_b32_e32 v4, 1, v4                                // 00000000715C: 20080881
	s_cmp_eq_u32 s88, 0                                        // 000000007160: BF068058
	s_cselect_b32 s61, 2, 4                                    // 000000007164: 853D8482
	v_mul_lo_u32 v4, v4, s61                                   // 000000007168: D2850004 00007B04
	v_and_b32_e64 v5, v0, 1                                    // 000000007170: D1130005 00010300
	v_add_u32_e32 v4, v4, v5                                   // 000000007178: 68080B04
	v_lshlrev_b32_e32 v4, 2, v4                                // 00000000717C: 24080882
	v_add_u32_e32 v70, v70, v4                                 // 000000007180: 688C0946
	v_add_u32_e32 v71, v71, v4                                 // 000000007184: 688E0947
	v_add_u32_e32 v72, v72, v4                                 // 000000007188: 68900948
	v_add_u32_e32 v73, v73, v4                                 // 00000000718C: 68920949
	v_add_u32_e32 v74, v74, v4                                 // 000000007190: 6894094A
	v_add_u32_e32 v75, v75, v4                                 // 000000007194: 6896094B
	v_add_u32_e32 v76, v76, v4                                 // 000000007198: 6898094C
	v_add_u32_e32 v77, v77, v4                                 // 00000000719C: 689A094D
	v_add_u32_e32 v78, v78, v4                                 // 0000000071A0: 689C094E
	v_add_u32_e32 v79, v79, v4                                 // 0000000071A4: 689E094F
	v_add_u32_e32 v80, v80, v4                                 // 0000000071A8: 68A00950
	v_add_u32_e32 v81, v81, v4                                 // 0000000071AC: 68A20951
	v_add_u32_e32 v82, v82, v4                                 // 0000000071B0: 68A40952
	v_add_u32_e32 v83, v83, v4                                 // 0000000071B4: 68A60953
	v_add_u32_e32 v84, v84, v4                                 // 0000000071B8: 68A80954
	v_add_u32_e32 v85, v85, v4                                 // 0000000071BC: 68AA0955
	v_add_u32_e32 v86, v86, v4                                 // 0000000071C0: 68AC0956
	v_add_u32_e32 v87, v87, v4                                 // 0000000071C4: 68AE0957
	v_add_u32_e32 v88, v88, v4                                 // 0000000071C8: 68B00958
	v_add_u32_e32 v89, v89, v4                                 // 0000000071CC: 68B20959
	s_waitcnt lgkmcnt(0)                                       // 0000000071D0: BF8CC07F
	s_barrier                                                  // 0000000071D4: BF8A0000
	ds_read_b32 v92, v21                                       // 0000000071D8: D86C0000 5C000015
	ds_read_b32 v93, v21 offset:64                             // 0000000071E0: D86C0040 5D000015
	ds_read_b32 v94, v21 offset:2176                           // 0000000071E8: D86C0880 5E000015
	ds_read_b32 v95, v21 offset:2240                           // 0000000071F0: D86C08C0 5F000015
	ds_read_b32 v96, v21 offset:4352                           // 0000000071F8: D86C1100 60000015
	ds_read_b32 v97, v21 offset:4416                           // 000000007200: D86C1140 61000015
	ds_read_b32 v98, v21 offset:6528                           // 000000007208: D86C1980 62000015
	ds_read_b32 v99, v21 offset:6592                           // 000000007210: D86C19C0 63000015
	ds_read_b32 v100, v21 offset:8704                          // 000000007218: D86C2200 64000015
	ds_read_b32 v101, v21 offset:8768                          // 000000007220: D86C2240 65000015
	ds_read_b32 v102, v21 offset:10880                         // 000000007228: D86C2A80 66000015
	ds_read_b32 v103, v21 offset:10944                         // 000000007230: D86C2AC0 67000015
	ds_read_b32 v104, v21 offset:13056                         // 000000007238: D86C3300 68000015
	ds_read_b32 v105, v21 offset:13120                         // 000000007240: D86C3340 69000015
	ds_read_b32 v106, v21 offset:15232                         // 000000007248: D86C3B80 6A000015
	ds_read_b32 v107, v21 offset:15296                         // 000000007250: D86C3BC0 6B000015
	ds_read_b32 v108, v21 offset:17408                         // 000000007258: D86C4400 6C000015
	ds_read_b32 v109, v21 offset:17472                         // 000000007260: D86C4440 6D000015
	ds_read_b32 v110, v21 offset:19584                         // 000000007268: D86C4C80 6E000015
	ds_read_b32 v111, v21 offset:19648                         // 000000007270: D86C4CC0 6F000015
	s_waitcnt lgkmcnt(0)                                       // 000000007278: BF8CC07F
	s_mov_b32 s36, -1                                          // 00000000727C: BEA400C1
	s_mov_b32 s37, -1                                          // 000000007280: BEA500C1
	v_mov_b32_e32 v7, 0                                        // 000000007284: 7E0E0280
	s_or_b32 s9, s9, 0x40000                                   // 000000007288: 8709FF09 00040000
	s_mov_b64 exec, s[36:37]                                   // 000000007290: BEFE0124
	v_mov_b32_e32 v6, v70                                      // 000000007294: 7E0C0346
	s_mov_b64 s[60:61], 0                                      // 000000007298: BEBC0180
	v_readlane_b32 s82, v3, 0                                  // 00000000729C: D2890052 00010103
	s_and_b32 s82, s82, 0xffffff                               // 0000000072A4: 8652FF52 00FFFFFF
	s_cmp_lt_u32 s82, s66                                      // 0000000072AC: BF0A4252
	s_cselect_b32 s20, s36, s60                                // 0000000072B0: 85143C24
	v_readlane_b32 s82, v3, 1                                  // 0000000072B4: D2890052 00010303
	s_and_b32 s82, s82, 0xffffff                               // 0000000072BC: 8652FF52 00FFFFFF
	s_cmp_lt_u32 s82, s66                                      // 0000000072C4: BF0A4252
	s_cselect_b32 s21, s36, s60                                // 0000000072C8: 85153C24
	s_mov_b64 exec, s[20:21]                                   // 0000000072CC: BEFE0114
	buffer_store_dword v92, v6, s[8:11], 0 offen               // 0000000072D0: E0701000 80025C06
	s_mov_b64 exec, s[36:37]                                   // 0000000072D8: BEFE0124
	v_mov_b32_e32 v6, v71                                      // 0000000072DC: 7E0C0347
	s_mov_b64 s[60:61], 0                                      // 0000000072E0: BEBC0180
	v_readlane_b32 s82, v3, 2                                  // 0000000072E4: D2890052 00010503
	s_and_b32 s82, s82, 0xffffff                               // 0000000072EC: 8652FF52 00FFFFFF
	s_cmp_lt_u32 s82, s66                                      // 0000000072F4: BF0A4252
	s_cselect_b32 s20, s36, s60                                // 0000000072F8: 85143C24
	v_readlane_b32 s82, v3, 3                                  // 0000000072FC: D2890052 00010703
	s_and_b32 s82, s82, 0xffffff                               // 000000007304: 8652FF52 00FFFFFF
	s_cmp_lt_u32 s82, s66                                      // 00000000730C: BF0A4252
	s_cselect_b32 s21, s36, s60                                // 000000007310: 85153C24
	s_mov_b64 exec, s[20:21]                                   // 000000007314: BEFE0114
	buffer_store_dword v93, v6, s[8:11], 0 offen               // 000000007318: E0701000 80025D06
	s_mov_b64 exec, s[36:37]                                   // 000000007320: BEFE0124
	v_mov_b32_e32 v6, v72                                      // 000000007324: 7E0C0348
	s_mov_b64 s[60:61], 0                                      // 000000007328: BEBC0180
	v_readlane_b32 s82, v3, 4                                  // 00000000732C: D2890052 00010903
	s_and_b32 s82, s82, 0xffffff                               // 000000007334: 8652FF52 00FFFFFF
	s_cmp_lt_u32 s82, s66                                      // 00000000733C: BF0A4252
	s_cselect_b32 s20, s36, s60                                // 000000007340: 85143C24
	v_readlane_b32 s82, v3, 5                                  // 000000007344: D2890052 00010B03
	s_and_b32 s82, s82, 0xffffff                               // 00000000734C: 8652FF52 00FFFFFF
	s_cmp_lt_u32 s82, s66                                      // 000000007354: BF0A4252
	s_cselect_b32 s21, s36, s60                                // 000000007358: 85153C24
	s_mov_b64 exec, s[20:21]                                   // 00000000735C: BEFE0114
	buffer_store_dword v94, v6, s[8:11], 0 offen               // 000000007360: E0701000 80025E06
	s_mov_b64 exec, s[36:37]                                   // 000000007368: BEFE0124
	v_mov_b32_e32 v6, v73                                      // 00000000736C: 7E0C0349
	s_mov_b64 s[60:61], 0                                      // 000000007370: BEBC0180
	v_readlane_b32 s82, v3, 6                                  // 000000007374: D2890052 00010D03
	s_and_b32 s82, s82, 0xffffff                               // 00000000737C: 8652FF52 00FFFFFF
	s_cmp_lt_u32 s82, s66                                      // 000000007384: BF0A4252
	s_cselect_b32 s20, s36, s60                                // 000000007388: 85143C24
	v_readlane_b32 s82, v3, 7                                  // 00000000738C: D2890052 00010F03
	s_and_b32 s82, s82, 0xffffff                               // 000000007394: 8652FF52 00FFFFFF
	s_cmp_lt_u32 s82, s66                                      // 00000000739C: BF0A4252
	s_cselect_b32 s21, s36, s60                                // 0000000073A0: 85153C24
	s_mov_b64 exec, s[20:21]                                   // 0000000073A4: BEFE0114
	buffer_store_dword v95, v6, s[8:11], 0 offen               // 0000000073A8: E0701000 80025F06
	s_mov_b64 exec, s[36:37]                                   // 0000000073B0: BEFE0124
	v_mov_b32_e32 v6, v74                                      // 0000000073B4: 7E0C034A
	s_mov_b64 s[60:61], 0                                      // 0000000073B8: BEBC0180
	v_readlane_b32 s82, v3, 8                                  // 0000000073BC: D2890052 00011103
	s_and_b32 s82, s82, 0xffffff                               // 0000000073C4: 8652FF52 00FFFFFF
	s_cmp_lt_u32 s82, s66                                      // 0000000073CC: BF0A4252
	s_cselect_b32 s20, s36, s60                                // 0000000073D0: 85143C24
	v_readlane_b32 s82, v3, 9                                  // 0000000073D4: D2890052 00011303
	s_and_b32 s82, s82, 0xffffff                               // 0000000073DC: 8652FF52 00FFFFFF
	s_cmp_lt_u32 s82, s66                                      // 0000000073E4: BF0A4252
	s_cselect_b32 s21, s36, s60                                // 0000000073E8: 85153C24
	s_mov_b64 exec, s[20:21]                                   // 0000000073EC: BEFE0114
	buffer_store_dword v96, v6, s[8:11], 0 offen               // 0000000073F0: E0701000 80026006
	s_mov_b64 exec, s[36:37]                                   // 0000000073F8: BEFE0124
	v_mov_b32_e32 v6, v75                                      // 0000000073FC: 7E0C034B
	s_mov_b64 s[60:61], 0                                      // 000000007400: BEBC0180
	v_readlane_b32 s82, v3, 10                                 // 000000007404: D2890052 00011503
	s_and_b32 s82, s82, 0xffffff                               // 00000000740C: 8652FF52 00FFFFFF
	s_cmp_lt_u32 s82, s66                                      // 000000007414: BF0A4252
	s_cselect_b32 s20, s36, s60                                // 000000007418: 85143C24
	v_readlane_b32 s82, v3, 11                                 // 00000000741C: D2890052 00011703
	s_and_b32 s82, s82, 0xffffff                               // 000000007424: 8652FF52 00FFFFFF
	s_cmp_lt_u32 s82, s66                                      // 00000000742C: BF0A4252
	s_cselect_b32 s21, s36, s60                                // 000000007430: 85153C24
	s_mov_b64 exec, s[20:21]                                   // 000000007434: BEFE0114
	buffer_store_dword v97, v6, s[8:11], 0 offen               // 000000007438: E0701000 80026106
	s_mov_b64 exec, s[36:37]                                   // 000000007440: BEFE0124
	v_mov_b32_e32 v6, v76                                      // 000000007444: 7E0C034C
	s_mov_b64 s[60:61], 0                                      // 000000007448: BEBC0180
	v_readlane_b32 s82, v3, 12                                 // 00000000744C: D2890052 00011903
	s_and_b32 s82, s82, 0xffffff                               // 000000007454: 8652FF52 00FFFFFF
	s_cmp_lt_u32 s82, s66                                      // 00000000745C: BF0A4252
	s_cselect_b32 s20, s36, s60                                // 000000007460: 85143C24
	v_readlane_b32 s82, v3, 13                                 // 000000007464: D2890052 00011B03
	s_and_b32 s82, s82, 0xffffff                               // 00000000746C: 8652FF52 00FFFFFF
	s_cmp_lt_u32 s82, s66                                      // 000000007474: BF0A4252
	s_cselect_b32 s21, s36, s60                                // 000000007478: 85153C24
	s_mov_b64 exec, s[20:21]                                   // 00000000747C: BEFE0114
	buffer_store_dword v98, v6, s[8:11], 0 offen               // 000000007480: E0701000 80026206
	s_mov_b64 exec, s[36:37]                                   // 000000007488: BEFE0124
	v_mov_b32_e32 v6, v77                                      // 00000000748C: 7E0C034D
	s_mov_b64 s[60:61], 0                                      // 000000007490: BEBC0180
	v_readlane_b32 s82, v3, 14                                 // 000000007494: D2890052 00011D03
	s_and_b32 s82, s82, 0xffffff                               // 00000000749C: 8652FF52 00FFFFFF
	s_cmp_lt_u32 s82, s66                                      // 0000000074A4: BF0A4252
	s_cselect_b32 s20, s36, s60                                // 0000000074A8: 85143C24
	v_readlane_b32 s82, v3, 15                                 // 0000000074AC: D2890052 00011F03
	s_and_b32 s82, s82, 0xffffff                               // 0000000074B4: 8652FF52 00FFFFFF
	s_cmp_lt_u32 s82, s66                                      // 0000000074BC: BF0A4252
	s_cselect_b32 s21, s36, s60                                // 0000000074C0: 85153C24
	s_mov_b64 exec, s[20:21]                                   // 0000000074C4: BEFE0114
	buffer_store_dword v99, v6, s[8:11], 0 offen               // 0000000074C8: E0701000 80026306
	s_mov_b64 exec, s[36:37]                                   // 0000000074D0: BEFE0124
	v_mov_b32_e32 v6, v78                                      // 0000000074D4: 7E0C034E
	s_mov_b64 s[60:61], 0                                      // 0000000074D8: BEBC0180
	v_readlane_b32 s82, v3, 16                                 // 0000000074DC: D2890052 00012103
	s_and_b32 s82, s82, 0xffffff                               // 0000000074E4: 8652FF52 00FFFFFF
	s_cmp_lt_u32 s82, s66                                      // 0000000074EC: BF0A4252
	s_cselect_b32 s20, s36, s60                                // 0000000074F0: 85143C24
	v_readlane_b32 s82, v3, 17                                 // 0000000074F4: D2890052 00012303
	s_and_b32 s82, s82, 0xffffff                               // 0000000074FC: 8652FF52 00FFFFFF
	s_cmp_lt_u32 s82, s66                                      // 000000007504: BF0A4252
	s_cselect_b32 s21, s36, s60                                // 000000007508: 85153C24
	s_mov_b64 exec, s[20:21]                                   // 00000000750C: BEFE0114
	buffer_store_dword v100, v6, s[8:11], 0 offen              // 000000007510: E0701000 80026406
	s_mov_b64 exec, s[36:37]                                   // 000000007518: BEFE0124
	v_mov_b32_e32 v6, v79                                      // 00000000751C: 7E0C034F
	s_mov_b64 s[60:61], 0                                      // 000000007520: BEBC0180
	v_readlane_b32 s82, v3, 18                                 // 000000007524: D2890052 00012503
	s_and_b32 s82, s82, 0xffffff                               // 00000000752C: 8652FF52 00FFFFFF
	s_cmp_lt_u32 s82, s66                                      // 000000007534: BF0A4252
	s_cselect_b32 s20, s36, s60                                // 000000007538: 85143C24
	v_readlane_b32 s82, v3, 19                                 // 00000000753C: D2890052 00012703
	s_and_b32 s82, s82, 0xffffff                               // 000000007544: 8652FF52 00FFFFFF
	s_cmp_lt_u32 s82, s66                                      // 00000000754C: BF0A4252
	s_cselect_b32 s21, s36, s60                                // 000000007550: 85153C24
	s_mov_b64 exec, s[20:21]                                   // 000000007554: BEFE0114
	buffer_store_dword v101, v6, s[8:11], 0 offen              // 000000007558: E0701000 80026506
	s_mov_b64 exec, s[36:37]                                   // 000000007560: BEFE0124
	v_mov_b32_e32 v6, v80                                      // 000000007564: 7E0C0350
	s_mov_b64 s[60:61], 0                                      // 000000007568: BEBC0180
	v_readlane_b32 s82, v3, 20                                 // 00000000756C: D2890052 00012903
	s_and_b32 s82, s82, 0xffffff                               // 000000007574: 8652FF52 00FFFFFF
	s_cmp_lt_u32 s82, s66                                      // 00000000757C: BF0A4252
	s_cselect_b32 s20, s36, s60                                // 000000007580: 85143C24
	v_readlane_b32 s82, v3, 21                                 // 000000007584: D2890052 00012B03
	s_and_b32 s82, s82, 0xffffff                               // 00000000758C: 8652FF52 00FFFFFF
	s_cmp_lt_u32 s82, s66                                      // 000000007594: BF0A4252
	s_cselect_b32 s21, s36, s60                                // 000000007598: 85153C24
	s_mov_b64 exec, s[20:21]                                   // 00000000759C: BEFE0114
	buffer_store_dword v102, v6, s[8:11], 0 offen              // 0000000075A0: E0701000 80026606
	s_mov_b64 exec, s[36:37]                                   // 0000000075A8: BEFE0124
	v_mov_b32_e32 v6, v81                                      // 0000000075AC: 7E0C0351
	s_mov_b64 s[60:61], 0                                      // 0000000075B0: BEBC0180
	v_readlane_b32 s82, v3, 22                                 // 0000000075B4: D2890052 00012D03
	s_and_b32 s82, s82, 0xffffff                               // 0000000075BC: 8652FF52 00FFFFFF
	s_cmp_lt_u32 s82, s66                                      // 0000000075C4: BF0A4252
	s_cselect_b32 s20, s36, s60                                // 0000000075C8: 85143C24
	v_readlane_b32 s82, v3, 23                                 // 0000000075CC: D2890052 00012F03
	s_and_b32 s82, s82, 0xffffff                               // 0000000075D4: 8652FF52 00FFFFFF
	s_cmp_lt_u32 s82, s66                                      // 0000000075DC: BF0A4252
	s_cselect_b32 s21, s36, s60                                // 0000000075E0: 85153C24
	s_mov_b64 exec, s[20:21]                                   // 0000000075E4: BEFE0114
	buffer_store_dword v103, v6, s[8:11], 0 offen              // 0000000075E8: E0701000 80026706
	s_mov_b64 exec, s[36:37]                                   // 0000000075F0: BEFE0124
	v_mov_b32_e32 v6, v82                                      // 0000000075F4: 7E0C0352
	s_mov_b64 s[60:61], 0                                      // 0000000075F8: BEBC0180
	v_readlane_b32 s82, v3, 24                                 // 0000000075FC: D2890052 00013103
	s_and_b32 s82, s82, 0xffffff                               // 000000007604: 8652FF52 00FFFFFF
	s_cmp_lt_u32 s82, s66                                      // 00000000760C: BF0A4252
	s_cselect_b32 s20, s36, s60                                // 000000007610: 85143C24
	v_readlane_b32 s82, v3, 25                                 // 000000007614: D2890052 00013303
	s_and_b32 s82, s82, 0xffffff                               // 00000000761C: 8652FF52 00FFFFFF
	s_cmp_lt_u32 s82, s66                                      // 000000007624: BF0A4252
	s_cselect_b32 s21, s36, s60                                // 000000007628: 85153C24
	s_mov_b64 exec, s[20:21]                                   // 00000000762C: BEFE0114
	buffer_store_dword v104, v6, s[8:11], 0 offen              // 000000007630: E0701000 80026806
	s_mov_b64 exec, s[36:37]                                   // 000000007638: BEFE0124
	v_mov_b32_e32 v6, v83                                      // 00000000763C: 7E0C0353
	s_mov_b64 s[60:61], 0                                      // 000000007640: BEBC0180
	v_readlane_b32 s82, v3, 26                                 // 000000007644: D2890052 00013503
	s_and_b32 s82, s82, 0xffffff                               // 00000000764C: 8652FF52 00FFFFFF
	s_cmp_lt_u32 s82, s66                                      // 000000007654: BF0A4252
	s_cselect_b32 s20, s36, s60                                // 000000007658: 85143C24
	v_readlane_b32 s82, v3, 27                                 // 00000000765C: D2890052 00013703
	s_and_b32 s82, s82, 0xffffff                               // 000000007664: 8652FF52 00FFFFFF
	s_cmp_lt_u32 s82, s66                                      // 00000000766C: BF0A4252
	s_cselect_b32 s21, s36, s60                                // 000000007670: 85153C24
	s_mov_b64 exec, s[20:21]                                   // 000000007674: BEFE0114
	buffer_store_dword v105, v6, s[8:11], 0 offen              // 000000007678: E0701000 80026906
	s_mov_b64 exec, s[36:37]                                   // 000000007680: BEFE0124
	v_mov_b32_e32 v6, v84                                      // 000000007684: 7E0C0354
	s_mov_b64 s[60:61], 0                                      // 000000007688: BEBC0180
	v_readlane_b32 s82, v3, 28                                 // 00000000768C: D2890052 00013903
	s_and_b32 s82, s82, 0xffffff                               // 000000007694: 8652FF52 00FFFFFF
	s_cmp_lt_u32 s82, s66                                      // 00000000769C: BF0A4252
	s_cselect_b32 s20, s36, s60                                // 0000000076A0: 85143C24
	v_readlane_b32 s82, v3, 29                                 // 0000000076A4: D2890052 00013B03
	s_and_b32 s82, s82, 0xffffff                               // 0000000076AC: 8652FF52 00FFFFFF
	s_cmp_lt_u32 s82, s66                                      // 0000000076B4: BF0A4252
	s_cselect_b32 s21, s36, s60                                // 0000000076B8: 85153C24
	s_mov_b64 exec, s[20:21]                                   // 0000000076BC: BEFE0114
	buffer_store_dword v106, v6, s[8:11], 0 offen              // 0000000076C0: E0701000 80026A06
	s_mov_b64 exec, s[36:37]                                   // 0000000076C8: BEFE0124
	v_mov_b32_e32 v6, v85                                      // 0000000076CC: 7E0C0355
	s_mov_b64 s[60:61], 0                                      // 0000000076D0: BEBC0180
	v_readlane_b32 s82, v3, 30                                 // 0000000076D4: D2890052 00013D03
	s_and_b32 s82, s82, 0xffffff                               // 0000000076DC: 8652FF52 00FFFFFF
	s_cmp_lt_u32 s82, s66                                      // 0000000076E4: BF0A4252
	s_cselect_b32 s20, s36, s60                                // 0000000076E8: 85143C24
	v_readlane_b32 s82, v3, 31                                 // 0000000076EC: D2890052 00013F03
	s_and_b32 s82, s82, 0xffffff                               // 0000000076F4: 8652FF52 00FFFFFF
	s_cmp_lt_u32 s82, s66                                      // 0000000076FC: BF0A4252
	s_cselect_b32 s21, s36, s60                                // 000000007700: 85153C24
	s_mov_b64 exec, s[20:21]                                   // 000000007704: BEFE0114
	buffer_store_dword v107, v6, s[8:11], 0 offen              // 000000007708: E0701000 80026B06
	s_mov_b64 exec, s[36:37]                                   // 000000007710: BEFE0124
	v_mov_b32_e32 v6, v86                                      // 000000007714: 7E0C0356
	s_mov_b64 s[60:61], 0                                      // 000000007718: BEBC0180
	v_readlane_b32 s82, v3, 32                                 // 00000000771C: D2890052 00014103
	s_and_b32 s82, s82, 0xffffff                               // 000000007724: 8652FF52 00FFFFFF
	s_cmp_lt_u32 s82, s66                                      // 00000000772C: BF0A4252
	s_cselect_b32 s20, s36, s60                                // 000000007730: 85143C24
	v_readlane_b32 s82, v3, 33                                 // 000000007734: D2890052 00014303
	s_and_b32 s82, s82, 0xffffff                               // 00000000773C: 8652FF52 00FFFFFF
	s_cmp_lt_u32 s82, s66                                      // 000000007744: BF0A4252
	s_cselect_b32 s21, s36, s60                                // 000000007748: 85153C24
	s_mov_b64 exec, s[20:21]                                   // 00000000774C: BEFE0114
	buffer_store_dword v108, v6, s[8:11], 0 offen              // 000000007750: E0701000 80026C06
	s_mov_b64 exec, s[36:37]                                   // 000000007758: BEFE0124
	v_mov_b32_e32 v6, v87                                      // 00000000775C: 7E0C0357
	s_mov_b64 s[60:61], 0                                      // 000000007760: BEBC0180
	v_readlane_b32 s82, v3, 34                                 // 000000007764: D2890052 00014503
	s_and_b32 s82, s82, 0xffffff                               // 00000000776C: 8652FF52 00FFFFFF
	s_cmp_lt_u32 s82, s66                                      // 000000007774: BF0A4252
	s_cselect_b32 s20, s36, s60                                // 000000007778: 85143C24
	v_readlane_b32 s82, v3, 35                                 // 00000000777C: D2890052 00014703
	s_and_b32 s82, s82, 0xffffff                               // 000000007784: 8652FF52 00FFFFFF
	s_cmp_lt_u32 s82, s66                                      // 00000000778C: BF0A4252
	s_cselect_b32 s21, s36, s60                                // 000000007790: 85153C24
	s_mov_b64 exec, s[20:21]                                   // 000000007794: BEFE0114
	buffer_store_dword v109, v6, s[8:11], 0 offen              // 000000007798: E0701000 80026D06
	s_mov_b64 exec, s[36:37]                                   // 0000000077A0: BEFE0124
	v_mov_b32_e32 v6, v88                                      // 0000000077A4: 7E0C0358
	s_mov_b64 s[60:61], 0                                      // 0000000077A8: BEBC0180
	v_readlane_b32 s82, v3, 36                                 // 0000000077AC: D2890052 00014903
	s_and_b32 s82, s82, 0xffffff                               // 0000000077B4: 8652FF52 00FFFFFF
	s_cmp_lt_u32 s82, s66                                      // 0000000077BC: BF0A4252
	s_cselect_b32 s20, s36, s60                                // 0000000077C0: 85143C24
	v_readlane_b32 s82, v3, 37                                 // 0000000077C4: D2890052 00014B03
	s_and_b32 s82, s82, 0xffffff                               // 0000000077CC: 8652FF52 00FFFFFF
	s_cmp_lt_u32 s82, s66                                      // 0000000077D4: BF0A4252
	s_cselect_b32 s21, s36, s60                                // 0000000077D8: 85153C24
	s_mov_b64 exec, s[20:21]                                   // 0000000077DC: BEFE0114
	buffer_store_dword v110, v6, s[8:11], 0 offen              // 0000000077E0: E0701000 80026E06
	s_mov_b64 exec, s[36:37]                                   // 0000000077E8: BEFE0124
	v_mov_b32_e32 v6, v89                                      // 0000000077EC: 7E0C0359
	s_mov_b64 s[60:61], 0                                      // 0000000077F0: BEBC0180
	v_readlane_b32 s82, v3, 38                                 // 0000000077F4: D2890052 00014D03
	s_and_b32 s82, s82, 0xffffff                               // 0000000077FC: 8652FF52 00FFFFFF
	s_cmp_lt_u32 s82, s66                                      // 000000007804: BF0A4252
	s_cselect_b32 s20, s36, s60                                // 000000007808: 85143C24
	v_readlane_b32 s82, v3, 39                                 // 00000000780C: D2890052 00014F03
	s_and_b32 s82, s82, 0xffffff                               // 000000007814: 8652FF52 00FFFFFF
	s_cmp_lt_u32 s82, s66                                      // 00000000781C: BF0A4252
	s_cselect_b32 s21, s36, s60                                // 000000007820: 85153C24
	s_mov_b64 exec, s[20:21]                                   // 000000007824: BEFE0114
	buffer_store_dword v111, v6, s[8:11], 0 offen              // 000000007828: E0701000 80026F06
	s_mov_b64 exec, s[36:37]                                   // 000000007830: BEFE0124
	s_branch label_342B                                        // 000000007834: BF82209A

0000000000007838 <label_138E>:
	ds_write_b64 v20, v[92:93]                                 // 000000007838: D89A0000 00005C14
	ds_write_b64 v20, v[96:97] offset:2176                     // 000000007840: D89A0880 00006014
	ds_write_b64 v20, v[100:101] offset:4352                   // 000000007848: D89A1100 00006414
	ds_write_b64 v20, v[104:105] offset:6528                   // 000000007850: D89A1980 00006814
	ds_write_b64 v20, v[108:109] offset:8704                   // 000000007858: D89A2200 00006C14
	ds_write_b64 v20, v[112:113] offset:10880                  // 000000007860: D89A2A80 00007014
	ds_write_b64 v20, v[116:117] offset:13056                  // 000000007868: D89A3300 00007414
	ds_write_b64 v20, v[120:121] offset:15232                  // 000000007870: D89A3B80 00007814
	ds_write_b64 v20, v[124:125] offset:17408                  // 000000007878: D89A4400 00007C14
	ds_write_b64 v20, v[128:129] offset:19584                  // 000000007880: D89A4C80 00008014
	v_lshrrev_b32_e32 v4, 5, v0                                // 000000007888: 20080085
	v_xor_b32_e32 v5, 1, v4                                    // 00000000788C: 2A0A0881
	s_mul_i32 s60, s65, 2                                      // 000000007890: 923C8241
	s_cmp_eq_u32 s88, 0                                        // 000000007894: BF068058
	s_cselect_b32 s61, 1, 4                                    // 000000007898: 853D8481
	s_mul_i32 s60, s61, s60                                    // 00000000789C: 923C3C3D
	v_readlane_b32 s82, v3, 0                                  // 0000000078A0: D2890052 00010103
	s_lshr_b32 s61, s82, 24                                    // 0000000078A8: 8F3D9852
	s_and_b32 s82, s82, 0xffffff                               // 0000000078AC: 8652FF52 00FFFFFF
	s_mul_i32 s82, s82, s71                                    // 0000000078B4: 92524752
	s_mul_i32 s61, s60, s61                                    // 0000000078B8: 923D3D3C
	s_add_u32 s82, s82, s61                                    // 0000000078BC: 80523D52
	v_mul_lo_u32 v6, v5, s82                                   // 0000000078C0: D2850006 0000A505
	v_readlane_b32 s82, v3, 1                                  // 0000000078C8: D2890052 00010303
	s_lshr_b32 s61, s82, 24                                    // 0000000078D0: 8F3D9852
	s_and_b32 s82, s82, 0xffffff                               // 0000000078D4: 8652FF52 00FFFFFF
	s_mul_i32 s82, s82, s71                                    // 0000000078DC: 92524752
	s_mul_i32 s61, s60, s61                                    // 0000000078E0: 923D3D3C
	s_add_u32 s82, s82, s61                                    // 0000000078E4: 80523D52
	v_mul_lo_u32 v7, v4, s82                                   // 0000000078E8: D2850007 0000A504
	v_add_u32_e32 v70, v6, v7                                  // 0000000078F0: 688C0F06
	v_readlane_b32 s82, v3, 2                                  // 0000000078F4: D2890052 00010503
	s_lshr_b32 s61, s82, 24                                    // 0000000078FC: 8F3D9852
	s_and_b32 s82, s82, 0xffffff                               // 000000007900: 8652FF52 00FFFFFF
	s_mul_i32 s82, s82, s71                                    // 000000007908: 92524752
	s_mul_i32 s61, s60, s61                                    // 00000000790C: 923D3D3C
	s_add_u32 s82, s82, s61                                    // 000000007910: 80523D52
	v_mul_lo_u32 v6, v5, s82                                   // 000000007914: D2850006 0000A505
	v_readlane_b32 s82, v3, 3                                  // 00000000791C: D2890052 00010703
	s_lshr_b32 s61, s82, 24                                    // 000000007924: 8F3D9852
	s_and_b32 s82, s82, 0xffffff                               // 000000007928: 8652FF52 00FFFFFF
	s_mul_i32 s82, s82, s71                                    // 000000007930: 92524752
	s_mul_i32 s61, s60, s61                                    // 000000007934: 923D3D3C
	s_add_u32 s82, s82, s61                                    // 000000007938: 80523D52
	v_mul_lo_u32 v7, v4, s82                                   // 00000000793C: D2850007 0000A504
	v_add_u32_e32 v71, v6, v7                                  // 000000007944: 688E0F06
	v_readlane_b32 s82, v3, 4                                  // 000000007948: D2890052 00010903
	s_lshr_b32 s61, s82, 24                                    // 000000007950: 8F3D9852
	s_and_b32 s82, s82, 0xffffff                               // 000000007954: 8652FF52 00FFFFFF
	s_mul_i32 s82, s82, s71                                    // 00000000795C: 92524752
	s_mul_i32 s61, s60, s61                                    // 000000007960: 923D3D3C
	s_add_u32 s82, s82, s61                                    // 000000007964: 80523D52
	v_mul_lo_u32 v6, v5, s82                                   // 000000007968: D2850006 0000A505
	v_readlane_b32 s82, v3, 5                                  // 000000007970: D2890052 00010B03
	s_lshr_b32 s61, s82, 24                                    // 000000007978: 8F3D9852
	s_and_b32 s82, s82, 0xffffff                               // 00000000797C: 8652FF52 00FFFFFF
	s_mul_i32 s82, s82, s71                                    // 000000007984: 92524752
	s_mul_i32 s61, s60, s61                                    // 000000007988: 923D3D3C
	s_add_u32 s82, s82, s61                                    // 00000000798C: 80523D52
	v_mul_lo_u32 v7, v4, s82                                   // 000000007990: D2850007 0000A504
	v_add_u32_e32 v72, v6, v7                                  // 000000007998: 68900F06
	v_readlane_b32 s82, v3, 6                                  // 00000000799C: D2890052 00010D03
	s_lshr_b32 s61, s82, 24                                    // 0000000079A4: 8F3D9852
	s_and_b32 s82, s82, 0xffffff                               // 0000000079A8: 8652FF52 00FFFFFF
	s_mul_i32 s82, s82, s71                                    // 0000000079B0: 92524752
	s_mul_i32 s61, s60, s61                                    // 0000000079B4: 923D3D3C
	s_add_u32 s82, s82, s61                                    // 0000000079B8: 80523D52
	v_mul_lo_u32 v6, v5, s82                                   // 0000000079BC: D2850006 0000A505
	v_readlane_b32 s82, v3, 7                                  // 0000000079C4: D2890052 00010F03
	s_lshr_b32 s61, s82, 24                                    // 0000000079CC: 8F3D9852
	s_and_b32 s82, s82, 0xffffff                               // 0000000079D0: 8652FF52 00FFFFFF
	s_mul_i32 s82, s82, s71                                    // 0000000079D8: 92524752
	s_mul_i32 s61, s60, s61                                    // 0000000079DC: 923D3D3C
	s_add_u32 s82, s82, s61                                    // 0000000079E0: 80523D52
	v_mul_lo_u32 v7, v4, s82                                   // 0000000079E4: D2850007 0000A504
	v_add_u32_e32 v73, v6, v7                                  // 0000000079EC: 68920F06
	v_readlane_b32 s82, v3, 8                                  // 0000000079F0: D2890052 00011103
	s_lshr_b32 s61, s82, 24                                    // 0000000079F8: 8F3D9852
	s_and_b32 s82, s82, 0xffffff                               // 0000000079FC: 8652FF52 00FFFFFF
	s_mul_i32 s82, s82, s71                                    // 000000007A04: 92524752
	s_mul_i32 s61, s60, s61                                    // 000000007A08: 923D3D3C
	s_add_u32 s82, s82, s61                                    // 000000007A0C: 80523D52
	v_mul_lo_u32 v6, v5, s82                                   // 000000007A10: D2850006 0000A505
	v_readlane_b32 s82, v3, 9                                  // 000000007A18: D2890052 00011303
	s_lshr_b32 s61, s82, 24                                    // 000000007A20: 8F3D9852
	s_and_b32 s82, s82, 0xffffff                               // 000000007A24: 8652FF52 00FFFFFF
	s_mul_i32 s82, s82, s71                                    // 000000007A2C: 92524752
	s_mul_i32 s61, s60, s61                                    // 000000007A30: 923D3D3C
	s_add_u32 s82, s82, s61                                    // 000000007A34: 80523D52
	v_mul_lo_u32 v7, v4, s82                                   // 000000007A38: D2850007 0000A504
	v_add_u32_e32 v74, v6, v7                                  // 000000007A40: 68940F06
	v_readlane_b32 s82, v3, 10                                 // 000000007A44: D2890052 00011503
	s_lshr_b32 s61, s82, 24                                    // 000000007A4C: 8F3D9852
	s_and_b32 s82, s82, 0xffffff                               // 000000007A50: 8652FF52 00FFFFFF
	s_mul_i32 s82, s82, s71                                    // 000000007A58: 92524752
	s_mul_i32 s61, s60, s61                                    // 000000007A5C: 923D3D3C
	s_add_u32 s82, s82, s61                                    // 000000007A60: 80523D52
	v_mul_lo_u32 v6, v5, s82                                   // 000000007A64: D2850006 0000A505
	v_readlane_b32 s82, v3, 11                                 // 000000007A6C: D2890052 00011703
	s_lshr_b32 s61, s82, 24                                    // 000000007A74: 8F3D9852
	s_and_b32 s82, s82, 0xffffff                               // 000000007A78: 8652FF52 00FFFFFF
	s_mul_i32 s82, s82, s71                                    // 000000007A80: 92524752
	s_mul_i32 s61, s60, s61                                    // 000000007A84: 923D3D3C
	s_add_u32 s82, s82, s61                                    // 000000007A88: 80523D52
	v_mul_lo_u32 v7, v4, s82                                   // 000000007A8C: D2850007 0000A504
	v_add_u32_e32 v75, v6, v7                                  // 000000007A94: 68960F06
	v_readlane_b32 s82, v3, 12                                 // 000000007A98: D2890052 00011903
	s_lshr_b32 s61, s82, 24                                    // 000000007AA0: 8F3D9852
	s_and_b32 s82, s82, 0xffffff                               // 000000007AA4: 8652FF52 00FFFFFF
	s_mul_i32 s82, s82, s71                                    // 000000007AAC: 92524752
	s_mul_i32 s61, s60, s61                                    // 000000007AB0: 923D3D3C
	s_add_u32 s82, s82, s61                                    // 000000007AB4: 80523D52
	v_mul_lo_u32 v6, v5, s82                                   // 000000007AB8: D2850006 0000A505
	v_readlane_b32 s82, v3, 13                                 // 000000007AC0: D2890052 00011B03
	s_lshr_b32 s61, s82, 24                                    // 000000007AC8: 8F3D9852
	s_and_b32 s82, s82, 0xffffff                               // 000000007ACC: 8652FF52 00FFFFFF
	s_mul_i32 s82, s82, s71                                    // 000000007AD4: 92524752
	s_mul_i32 s61, s60, s61                                    // 000000007AD8: 923D3D3C
	s_add_u32 s82, s82, s61                                    // 000000007ADC: 80523D52
	v_mul_lo_u32 v7, v4, s82                                   // 000000007AE0: D2850007 0000A504
	v_add_u32_e32 v76, v6, v7                                  // 000000007AE8: 68980F06
	v_readlane_b32 s82, v3, 14                                 // 000000007AEC: D2890052 00011D03
	s_lshr_b32 s61, s82, 24                                    // 000000007AF4: 8F3D9852
	s_and_b32 s82, s82, 0xffffff                               // 000000007AF8: 8652FF52 00FFFFFF
	s_mul_i32 s82, s82, s71                                    // 000000007B00: 92524752
	s_mul_i32 s61, s60, s61                                    // 000000007B04: 923D3D3C
	s_add_u32 s82, s82, s61                                    // 000000007B08: 80523D52
	v_mul_lo_u32 v6, v5, s82                                   // 000000007B0C: D2850006 0000A505
	v_readlane_b32 s82, v3, 15                                 // 000000007B14: D2890052 00011F03
	s_lshr_b32 s61, s82, 24                                    // 000000007B1C: 8F3D9852
	s_and_b32 s82, s82, 0xffffff                               // 000000007B20: 8652FF52 00FFFFFF
	s_mul_i32 s82, s82, s71                                    // 000000007B28: 92524752
	s_mul_i32 s61, s60, s61                                    // 000000007B2C: 923D3D3C
	s_add_u32 s82, s82, s61                                    // 000000007B30: 80523D52
	v_mul_lo_u32 v7, v4, s82                                   // 000000007B34: D2850007 0000A504
	v_add_u32_e32 v77, v6, v7                                  // 000000007B3C: 689A0F06
	v_readlane_b32 s82, v3, 16                                 // 000000007B40: D2890052 00012103
	s_lshr_b32 s61, s82, 24                                    // 000000007B48: 8F3D9852
	s_and_b32 s82, s82, 0xffffff                               // 000000007B4C: 8652FF52 00FFFFFF
	s_mul_i32 s82, s82, s71                                    // 000000007B54: 92524752
	s_mul_i32 s61, s60, s61                                    // 000000007B58: 923D3D3C
	s_add_u32 s82, s82, s61                                    // 000000007B5C: 80523D52
	v_mul_lo_u32 v6, v5, s82                                   // 000000007B60: D2850006 0000A505
	v_readlane_b32 s82, v3, 17                                 // 000000007B68: D2890052 00012303
	s_lshr_b32 s61, s82, 24                                    // 000000007B70: 8F3D9852
	s_and_b32 s82, s82, 0xffffff                               // 000000007B74: 8652FF52 00FFFFFF
	s_mul_i32 s82, s82, s71                                    // 000000007B7C: 92524752
	s_mul_i32 s61, s60, s61                                    // 000000007B80: 923D3D3C
	s_add_u32 s82, s82, s61                                    // 000000007B84: 80523D52
	v_mul_lo_u32 v7, v4, s82                                   // 000000007B88: D2850007 0000A504
	v_add_u32_e32 v78, v6, v7                                  // 000000007B90: 689C0F06
	v_readlane_b32 s82, v3, 18                                 // 000000007B94: D2890052 00012503
	s_lshr_b32 s61, s82, 24                                    // 000000007B9C: 8F3D9852
	s_and_b32 s82, s82, 0xffffff                               // 000000007BA0: 8652FF52 00FFFFFF
	s_mul_i32 s82, s82, s71                                    // 000000007BA8: 92524752
	s_mul_i32 s61, s60, s61                                    // 000000007BAC: 923D3D3C
	s_add_u32 s82, s82, s61                                    // 000000007BB0: 80523D52
	v_mul_lo_u32 v6, v5, s82                                   // 000000007BB4: D2850006 0000A505
	v_readlane_b32 s82, v3, 19                                 // 000000007BBC: D2890052 00012703
	s_lshr_b32 s61, s82, 24                                    // 000000007BC4: 8F3D9852
	s_and_b32 s82, s82, 0xffffff                               // 000000007BC8: 8652FF52 00FFFFFF
	s_mul_i32 s82, s82, s71                                    // 000000007BD0: 92524752
	s_mul_i32 s61, s60, s61                                    // 000000007BD4: 923D3D3C
	s_add_u32 s82, s82, s61                                    // 000000007BD8: 80523D52
	v_mul_lo_u32 v7, v4, s82                                   // 000000007BDC: D2850007 0000A504
	v_add_u32_e32 v79, v6, v7                                  // 000000007BE4: 689E0F06
	v_readlane_b32 s82, v3, 20                                 // 000000007BE8: D2890052 00012903
	s_lshr_b32 s61, s82, 24                                    // 000000007BF0: 8F3D9852
	s_and_b32 s82, s82, 0xffffff                               // 000000007BF4: 8652FF52 00FFFFFF
	s_mul_i32 s82, s82, s71                                    // 000000007BFC: 92524752
	s_mul_i32 s61, s60, s61                                    // 000000007C00: 923D3D3C
	s_add_u32 s82, s82, s61                                    // 000000007C04: 80523D52
	v_mul_lo_u32 v6, v5, s82                                   // 000000007C08: D2850006 0000A505
	v_readlane_b32 s82, v3, 21                                 // 000000007C10: D2890052 00012B03
	s_lshr_b32 s61, s82, 24                                    // 000000007C18: 8F3D9852
	s_and_b32 s82, s82, 0xffffff                               // 000000007C1C: 8652FF52 00FFFFFF
	s_mul_i32 s82, s82, s71                                    // 000000007C24: 92524752
	s_mul_i32 s61, s60, s61                                    // 000000007C28: 923D3D3C
	s_add_u32 s82, s82, s61                                    // 000000007C2C: 80523D52
	v_mul_lo_u32 v7, v4, s82                                   // 000000007C30: D2850007 0000A504
	v_add_u32_e32 v80, v6, v7                                  // 000000007C38: 68A00F06
	v_readlane_b32 s82, v3, 22                                 // 000000007C3C: D2890052 00012D03
	s_lshr_b32 s61, s82, 24                                    // 000000007C44: 8F3D9852
	s_and_b32 s82, s82, 0xffffff                               // 000000007C48: 8652FF52 00FFFFFF
	s_mul_i32 s82, s82, s71                                    // 000000007C50: 92524752
	s_mul_i32 s61, s60, s61                                    // 000000007C54: 923D3D3C
	s_add_u32 s82, s82, s61                                    // 000000007C58: 80523D52
	v_mul_lo_u32 v6, v5, s82                                   // 000000007C5C: D2850006 0000A505
	v_readlane_b32 s82, v3, 23                                 // 000000007C64: D2890052 00012F03
	s_lshr_b32 s61, s82, 24                                    // 000000007C6C: 8F3D9852
	s_and_b32 s82, s82, 0xffffff                               // 000000007C70: 8652FF52 00FFFFFF
	s_mul_i32 s82, s82, s71                                    // 000000007C78: 92524752
	s_mul_i32 s61, s60, s61                                    // 000000007C7C: 923D3D3C
	s_add_u32 s82, s82, s61                                    // 000000007C80: 80523D52
	v_mul_lo_u32 v7, v4, s82                                   // 000000007C84: D2850007 0000A504
	v_add_u32_e32 v81, v6, v7                                  // 000000007C8C: 68A20F06
	v_readlane_b32 s82, v3, 24                                 // 000000007C90: D2890052 00013103
	s_lshr_b32 s61, s82, 24                                    // 000000007C98: 8F3D9852
	s_and_b32 s82, s82, 0xffffff                               // 000000007C9C: 8652FF52 00FFFFFF
	s_mul_i32 s82, s82, s71                                    // 000000007CA4: 92524752
	s_mul_i32 s61, s60, s61                                    // 000000007CA8: 923D3D3C
	s_add_u32 s82, s82, s61                                    // 000000007CAC: 80523D52
	v_mul_lo_u32 v6, v5, s82                                   // 000000007CB0: D2850006 0000A505
	v_readlane_b32 s82, v3, 25                                 // 000000007CB8: D2890052 00013303
	s_lshr_b32 s61, s82, 24                                    // 000000007CC0: 8F3D9852
	s_and_b32 s82, s82, 0xffffff                               // 000000007CC4: 8652FF52 00FFFFFF
	s_mul_i32 s82, s82, s71                                    // 000000007CCC: 92524752
	s_mul_i32 s61, s60, s61                                    // 000000007CD0: 923D3D3C
	s_add_u32 s82, s82, s61                                    // 000000007CD4: 80523D52
	v_mul_lo_u32 v7, v4, s82                                   // 000000007CD8: D2850007 0000A504
	v_add_u32_e32 v82, v6, v7                                  // 000000007CE0: 68A40F06
	v_readlane_b32 s82, v3, 26                                 // 000000007CE4: D2890052 00013503
	s_lshr_b32 s61, s82, 24                                    // 000000007CEC: 8F3D9852
	s_and_b32 s82, s82, 0xffffff                               // 000000007CF0: 8652FF52 00FFFFFF
	s_mul_i32 s82, s82, s71                                    // 000000007CF8: 92524752
	s_mul_i32 s61, s60, s61                                    // 000000007CFC: 923D3D3C
	s_add_u32 s82, s82, s61                                    // 000000007D00: 80523D52
	v_mul_lo_u32 v6, v5, s82                                   // 000000007D04: D2850006 0000A505
	v_readlane_b32 s82, v3, 27                                 // 000000007D0C: D2890052 00013703
	s_lshr_b32 s61, s82, 24                                    // 000000007D14: 8F3D9852
	s_and_b32 s82, s82, 0xffffff                               // 000000007D18: 8652FF52 00FFFFFF
	s_mul_i32 s82, s82, s71                                    // 000000007D20: 92524752
	s_mul_i32 s61, s60, s61                                    // 000000007D24: 923D3D3C
	s_add_u32 s82, s82, s61                                    // 000000007D28: 80523D52
	v_mul_lo_u32 v7, v4, s82                                   // 000000007D2C: D2850007 0000A504
	v_add_u32_e32 v83, v6, v7                                  // 000000007D34: 68A60F06
	v_readlane_b32 s82, v3, 28                                 // 000000007D38: D2890052 00013903
	s_lshr_b32 s61, s82, 24                                    // 000000007D40: 8F3D9852
	s_and_b32 s82, s82, 0xffffff                               // 000000007D44: 8652FF52 00FFFFFF
	s_mul_i32 s82, s82, s71                                    // 000000007D4C: 92524752
	s_mul_i32 s61, s60, s61                                    // 000000007D50: 923D3D3C
	s_add_u32 s82, s82, s61                                    // 000000007D54: 80523D52
	v_mul_lo_u32 v6, v5, s82                                   // 000000007D58: D2850006 0000A505
	v_readlane_b32 s82, v3, 29                                 // 000000007D60: D2890052 00013B03
	s_lshr_b32 s61, s82, 24                                    // 000000007D68: 8F3D9852
	s_and_b32 s82, s82, 0xffffff                               // 000000007D6C: 8652FF52 00FFFFFF
	s_mul_i32 s82, s82, s71                                    // 000000007D74: 92524752
	s_mul_i32 s61, s60, s61                                    // 000000007D78: 923D3D3C
	s_add_u32 s82, s82, s61                                    // 000000007D7C: 80523D52
	v_mul_lo_u32 v7, v4, s82                                   // 000000007D80: D2850007 0000A504
	v_add_u32_e32 v84, v6, v7                                  // 000000007D88: 68A80F06
	v_readlane_b32 s82, v3, 30                                 // 000000007D8C: D2890052 00013D03
	s_lshr_b32 s61, s82, 24                                    // 000000007D94: 8F3D9852
	s_and_b32 s82, s82, 0xffffff                               // 000000007D98: 8652FF52 00FFFFFF
	s_mul_i32 s82, s82, s71                                    // 000000007DA0: 92524752
	s_mul_i32 s61, s60, s61                                    // 000000007DA4: 923D3D3C
	s_add_u32 s82, s82, s61                                    // 000000007DA8: 80523D52
	v_mul_lo_u32 v6, v5, s82                                   // 000000007DAC: D2850006 0000A505
	v_readlane_b32 s82, v3, 31                                 // 000000007DB4: D2890052 00013F03
	s_lshr_b32 s61, s82, 24                                    // 000000007DBC: 8F3D9852
	s_and_b32 s82, s82, 0xffffff                               // 000000007DC0: 8652FF52 00FFFFFF
	s_mul_i32 s82, s82, s71                                    // 000000007DC8: 92524752
	s_mul_i32 s61, s60, s61                                    // 000000007DCC: 923D3D3C
	s_add_u32 s82, s82, s61                                    // 000000007DD0: 80523D52
	v_mul_lo_u32 v7, v4, s82                                   // 000000007DD4: D2850007 0000A504
	v_add_u32_e32 v85, v6, v7                                  // 000000007DDC: 68AA0F06
	v_readlane_b32 s82, v3, 32                                 // 000000007DE0: D2890052 00014103
	s_lshr_b32 s61, s82, 24                                    // 000000007DE8: 8F3D9852
	s_and_b32 s82, s82, 0xffffff                               // 000000007DEC: 8652FF52 00FFFFFF
	s_mul_i32 s82, s82, s71                                    // 000000007DF4: 92524752
	s_mul_i32 s61, s60, s61                                    // 000000007DF8: 923D3D3C
	s_add_u32 s82, s82, s61                                    // 000000007DFC: 80523D52
	v_mul_lo_u32 v6, v5, s82                                   // 000000007E00: D2850006 0000A505
	v_readlane_b32 s82, v3, 33                                 // 000000007E08: D2890052 00014303
	s_lshr_b32 s61, s82, 24                                    // 000000007E10: 8F3D9852
	s_and_b32 s82, s82, 0xffffff                               // 000000007E14: 8652FF52 00FFFFFF
	s_mul_i32 s82, s82, s71                                    // 000000007E1C: 92524752
	s_mul_i32 s61, s60, s61                                    // 000000007E20: 923D3D3C
	s_add_u32 s82, s82, s61                                    // 000000007E24: 80523D52
	v_mul_lo_u32 v7, v4, s82                                   // 000000007E28: D2850007 0000A504
	v_add_u32_e32 v86, v6, v7                                  // 000000007E30: 68AC0F06
	v_readlane_b32 s82, v3, 34                                 // 000000007E34: D2890052 00014503
	s_lshr_b32 s61, s82, 24                                    // 000000007E3C: 8F3D9852
	s_and_b32 s82, s82, 0xffffff                               // 000000007E40: 8652FF52 00FFFFFF
	s_mul_i32 s82, s82, s71                                    // 000000007E48: 92524752
	s_mul_i32 s61, s60, s61                                    // 000000007E4C: 923D3D3C
	s_add_u32 s82, s82, s61                                    // 000000007E50: 80523D52
	v_mul_lo_u32 v6, v5, s82                                   // 000000007E54: D2850006 0000A505
	v_readlane_b32 s82, v3, 35                                 // 000000007E5C: D2890052 00014703
	s_lshr_b32 s61, s82, 24                                    // 000000007E64: 8F3D9852
	s_and_b32 s82, s82, 0xffffff                               // 000000007E68: 8652FF52 00FFFFFF
	s_mul_i32 s82, s82, s71                                    // 000000007E70: 92524752
	s_mul_i32 s61, s60, s61                                    // 000000007E74: 923D3D3C
	s_add_u32 s82, s82, s61                                    // 000000007E78: 80523D52
	v_mul_lo_u32 v7, v4, s82                                   // 000000007E7C: D2850007 0000A504
	v_add_u32_e32 v87, v6, v7                                  // 000000007E84: 68AE0F06
	v_readlane_b32 s82, v3, 36                                 // 000000007E88: D2890052 00014903
	s_lshr_b32 s61, s82, 24                                    // 000000007E90: 8F3D9852
	s_and_b32 s82, s82, 0xffffff                               // 000000007E94: 8652FF52 00FFFFFF
	s_mul_i32 s82, s82, s71                                    // 000000007E9C: 92524752
	s_mul_i32 s61, s60, s61                                    // 000000007EA0: 923D3D3C
	s_add_u32 s82, s82, s61                                    // 000000007EA4: 80523D52
	v_mul_lo_u32 v6, v5, s82                                   // 000000007EA8: D2850006 0000A505
	v_readlane_b32 s82, v3, 37                                 // 000000007EB0: D2890052 00014B03
	s_lshr_b32 s61, s82, 24                                    // 000000007EB8: 8F3D9852
	s_and_b32 s82, s82, 0xffffff                               // 000000007EBC: 8652FF52 00FFFFFF
	s_mul_i32 s82, s82, s71                                    // 000000007EC4: 92524752
	s_mul_i32 s61, s60, s61                                    // 000000007EC8: 923D3D3C
	s_add_u32 s82, s82, s61                                    // 000000007ECC: 80523D52
	v_mul_lo_u32 v7, v4, s82                                   // 000000007ED0: D2850007 0000A504
	v_add_u32_e32 v88, v6, v7                                  // 000000007ED8: 68B00F06
	v_readlane_b32 s82, v3, 38                                 // 000000007EDC: D2890052 00014D03
	s_lshr_b32 s61, s82, 24                                    // 000000007EE4: 8F3D9852
	s_and_b32 s82, s82, 0xffffff                               // 000000007EE8: 8652FF52 00FFFFFF
	s_mul_i32 s82, s82, s71                                    // 000000007EF0: 92524752
	s_mul_i32 s61, s60, s61                                    // 000000007EF4: 923D3D3C
	s_add_u32 s82, s82, s61                                    // 000000007EF8: 80523D52
	v_mul_lo_u32 v6, v5, s82                                   // 000000007EFC: D2850006 0000A505
	v_readlane_b32 s82, v3, 39                                 // 000000007F04: D2890052 00014F03
	s_lshr_b32 s61, s82, 24                                    // 000000007F0C: 8F3D9852
	s_and_b32 s82, s82, 0xffffff                               // 000000007F10: 8652FF52 00FFFFFF
	s_mul_i32 s82, s82, s71                                    // 000000007F18: 92524752
	s_mul_i32 s61, s60, s61                                    // 000000007F1C: 923D3D3C
	s_add_u32 s82, s82, s61                                    // 000000007F20: 80523D52
	v_mul_lo_u32 v7, v4, s82                                   // 000000007F24: D2850007 0000A504
	v_add_u32_e32 v89, v6, v7                                  // 000000007F2C: 68B20F06
	v_and_b32_e32 v4, 31, v0                                   // 000000007F30: 2608009F
	v_lshrrev_b32_e32 v4, 1, v4                                // 000000007F34: 20080881
	s_cmp_eq_u32 s88, 0                                        // 000000007F38: BF068058
	s_cselect_b32 s61, 2, 4                                    // 000000007F3C: 853D8482
	v_mul_lo_u32 v4, v4, s61                                   // 000000007F40: D2850004 00007B04
	v_and_b32_e64 v5, v0, 1                                    // 000000007F48: D1130005 00010300
	v_add_u32_e32 v4, v4, v5                                   // 000000007F50: 68080B04
	v_lshlrev_b32_e32 v4, 2, v4                                // 000000007F54: 24080882
	v_add_u32_e32 v70, v70, v4                                 // 000000007F58: 688C0946
	v_add_u32_e32 v71, v71, v4                                 // 000000007F5C: 688E0947
	v_add_u32_e32 v72, v72, v4                                 // 000000007F60: 68900948
	v_add_u32_e32 v73, v73, v4                                 // 000000007F64: 68920949
	v_add_u32_e32 v74, v74, v4                                 // 000000007F68: 6894094A
	v_add_u32_e32 v75, v75, v4                                 // 000000007F6C: 6896094B
	v_add_u32_e32 v76, v76, v4                                 // 000000007F70: 6898094C
	v_add_u32_e32 v77, v77, v4                                 // 000000007F74: 689A094D
	v_add_u32_e32 v78, v78, v4                                 // 000000007F78: 689C094E
	v_add_u32_e32 v79, v79, v4                                 // 000000007F7C: 689E094F
	v_add_u32_e32 v80, v80, v4                                 // 000000007F80: 68A00950
	v_add_u32_e32 v81, v81, v4                                 // 000000007F84: 68A20951
	v_add_u32_e32 v82, v82, v4                                 // 000000007F88: 68A40952
	v_add_u32_e32 v83, v83, v4                                 // 000000007F8C: 68A60953
	v_add_u32_e32 v84, v84, v4                                 // 000000007F90: 68A80954
	v_add_u32_e32 v85, v85, v4                                 // 000000007F94: 68AA0955
	v_add_u32_e32 v86, v86, v4                                 // 000000007F98: 68AC0956
	v_add_u32_e32 v87, v87, v4                                 // 000000007F9C: 68AE0957
	v_add_u32_e32 v88, v88, v4                                 // 000000007FA0: 68B00958
	v_add_u32_e32 v89, v89, v4                                 // 000000007FA4: 68B20959
	s_waitcnt lgkmcnt(0)                                       // 000000007FA8: BF8CC07F
	s_barrier                                                  // 000000007FAC: BF8A0000
	ds_read_b32 v92, v21                                       // 000000007FB0: D86C0000 5C000015
	ds_read_b32 v93, v21 offset:64                             // 000000007FB8: D86C0040 5D000015
	ds_read_b32 v96, v21 offset:2176                           // 000000007FC0: D86C0880 60000015
	ds_read_b32 v97, v21 offset:2240                           // 000000007FC8: D86C08C0 61000015
	ds_read_b32 v100, v21 offset:4352                          // 000000007FD0: D86C1100 64000015
	ds_read_b32 v101, v21 offset:4416                          // 000000007FD8: D86C1140 65000015
	ds_read_b32 v104, v21 offset:6528                          // 000000007FE0: D86C1980 68000015
	ds_read_b32 v105, v21 offset:6592                          // 000000007FE8: D86C19C0 69000015
	ds_read_b32 v108, v21 offset:8704                          // 000000007FF0: D86C2200 6C000015
	ds_read_b32 v109, v21 offset:8768                          // 000000007FF8: D86C2240 6D000015
	ds_read_b32 v112, v21 offset:10880                         // 000000008000: D86C2A80 70000015
	ds_read_b32 v113, v21 offset:10944                         // 000000008008: D86C2AC0 71000015
	ds_read_b32 v116, v21 offset:13056                         // 000000008010: D86C3300 74000015
	ds_read_b32 v117, v21 offset:13120                         // 000000008018: D86C3340 75000015
	ds_read_b32 v120, v21 offset:15232                         // 000000008020: D86C3B80 78000015
	ds_read_b32 v121, v21 offset:15296                         // 000000008028: D86C3BC0 79000015
	ds_read_b32 v124, v21 offset:17408                         // 000000008030: D86C4400 7C000015
	ds_read_b32 v125, v21 offset:17472                         // 000000008038: D86C4440 7D000015
	ds_read_b32 v128, v21 offset:19584                         // 000000008040: D86C4C80 80000015
	ds_read_b32 v129, v21 offset:19648                         // 000000008048: D86C4CC0 81000015
	s_waitcnt lgkmcnt(0)                                       // 000000008050: BF8CC07F
	s_mov_b32 s36, -1                                          // 000000008054: BEA400C1
	s_mov_b32 s37, -1                                          // 000000008058: BEA500C1
	v_mov_b32_e32 v7, 0                                        // 00000000805C: 7E0E0280
	s_mov_b64 exec, s[36:37]                                   // 000000008060: BEFE0124
	v_mov_b32_e32 v6, v70                                      // 000000008064: 7E0C0346
	s_mov_b64 s[60:61], 0                                      // 000000008068: BEBC0180
	v_readlane_b32 s82, v3, 0                                  // 00000000806C: D2890052 00010103
	s_and_b32 s82, s82, 0xffffff                               // 000000008074: 8652FF52 00FFFFFF
	s_cmp_lt_u32 s82, s66                                      // 00000000807C: BF0A4252
	s_cselect_b32 s20, s36, s60                                // 000000008080: 85143C24
	v_readlane_b32 s82, v3, 1                                  // 000000008084: D2890052 00010303
	s_and_b32 s82, s82, 0xffffff                               // 00000000808C: 8652FF52 00FFFFFF
	s_cmp_lt_u32 s82, s66                                      // 000000008094: BF0A4252
	s_cselect_b32 s21, s36, s60                                // 000000008098: 85153C24
	s_mov_b64 exec, s[20:21]                                   // 00000000809C: BEFE0114
	global_atomic_add_f32 v6, v92, s[8:9]                      // 0000000080A0: DD348000 00085C06
	s_mov_b64 exec, s[36:37]                                   // 0000000080A8: BEFE0124
	v_mov_b32_e32 v6, v71                                      // 0000000080AC: 7E0C0347
	s_mov_b64 s[60:61], 0                                      // 0000000080B0: BEBC0180
	v_readlane_b32 s82, v3, 2                                  // 0000000080B4: D2890052 00010503
	s_and_b32 s82, s82, 0xffffff                               // 0000000080BC: 8652FF52 00FFFFFF
	s_cmp_lt_u32 s82, s66                                      // 0000000080C4: BF0A4252
	s_cselect_b32 s20, s36, s60                                // 0000000080C8: 85143C24
	v_readlane_b32 s82, v3, 3                                  // 0000000080CC: D2890052 00010703
	s_and_b32 s82, s82, 0xffffff                               // 0000000080D4: 8652FF52 00FFFFFF
	s_cmp_lt_u32 s82, s66                                      // 0000000080DC: BF0A4252
	s_cselect_b32 s21, s36, s60                                // 0000000080E0: 85153C24
	s_mov_b64 exec, s[20:21]                                   // 0000000080E4: BEFE0114
	global_atomic_add_f32 v6, v93, s[8:9]                      // 0000000080E8: DD348000 00085D06
	s_mov_b64 exec, s[36:37]                                   // 0000000080F0: BEFE0124
	v_mov_b32_e32 v6, v72                                      // 0000000080F4: 7E0C0348
	s_mov_b64 s[60:61], 0                                      // 0000000080F8: BEBC0180
	v_readlane_b32 s82, v3, 4                                  // 0000000080FC: D2890052 00010903
	s_and_b32 s82, s82, 0xffffff                               // 000000008104: 8652FF52 00FFFFFF
	s_cmp_lt_u32 s82, s66                                      // 00000000810C: BF0A4252
	s_cselect_b32 s20, s36, s60                                // 000000008110: 85143C24
	v_readlane_b32 s82, v3, 5                                  // 000000008114: D2890052 00010B03
	s_and_b32 s82, s82, 0xffffff                               // 00000000811C: 8652FF52 00FFFFFF
	s_cmp_lt_u32 s82, s66                                      // 000000008124: BF0A4252
	s_cselect_b32 s21, s36, s60                                // 000000008128: 85153C24
	s_mov_b64 exec, s[20:21]                                   // 00000000812C: BEFE0114
	global_atomic_add_f32 v6, v96, s[8:9]                      // 000000008130: DD348000 00086006
	s_mov_b64 exec, s[36:37]                                   // 000000008138: BEFE0124
	v_mov_b32_e32 v6, v73                                      // 00000000813C: 7E0C0349
	s_mov_b64 s[60:61], 0                                      // 000000008140: BEBC0180
	v_readlane_b32 s82, v3, 6                                  // 000000008144: D2890052 00010D03
	s_and_b32 s82, s82, 0xffffff                               // 00000000814C: 8652FF52 00FFFFFF
	s_cmp_lt_u32 s82, s66                                      // 000000008154: BF0A4252
	s_cselect_b32 s20, s36, s60                                // 000000008158: 85143C24
	v_readlane_b32 s82, v3, 7                                  // 00000000815C: D2890052 00010F03
	s_and_b32 s82, s82, 0xffffff                               // 000000008164: 8652FF52 00FFFFFF
	s_cmp_lt_u32 s82, s66                                      // 00000000816C: BF0A4252
	s_cselect_b32 s21, s36, s60                                // 000000008170: 85153C24
	s_mov_b64 exec, s[20:21]                                   // 000000008174: BEFE0114
	global_atomic_add_f32 v6, v97, s[8:9]                      // 000000008178: DD348000 00086106
	s_mov_b64 exec, s[36:37]                                   // 000000008180: BEFE0124
	v_mov_b32_e32 v6, v74                                      // 000000008184: 7E0C034A
	s_mov_b64 s[60:61], 0                                      // 000000008188: BEBC0180
	v_readlane_b32 s82, v3, 8                                  // 00000000818C: D2890052 00011103
	s_and_b32 s82, s82, 0xffffff                               // 000000008194: 8652FF52 00FFFFFF
	s_cmp_lt_u32 s82, s66                                      // 00000000819C: BF0A4252
	s_cselect_b32 s20, s36, s60                                // 0000000081A0: 85143C24
	v_readlane_b32 s82, v3, 9                                  // 0000000081A4: D2890052 00011303
	s_and_b32 s82, s82, 0xffffff                               // 0000000081AC: 8652FF52 00FFFFFF
	s_cmp_lt_u32 s82, s66                                      // 0000000081B4: BF0A4252
	s_cselect_b32 s21, s36, s60                                // 0000000081B8: 85153C24
	s_mov_b64 exec, s[20:21]                                   // 0000000081BC: BEFE0114
	global_atomic_add_f32 v6, v100, s[8:9]                     // 0000000081C0: DD348000 00086406
	s_mov_b64 exec, s[36:37]                                   // 0000000081C8: BEFE0124
	v_mov_b32_e32 v6, v75                                      // 0000000081CC: 7E0C034B
	s_mov_b64 s[60:61], 0                                      // 0000000081D0: BEBC0180
	v_readlane_b32 s82, v3, 10                                 // 0000000081D4: D2890052 00011503
	s_and_b32 s82, s82, 0xffffff                               // 0000000081DC: 8652FF52 00FFFFFF
	s_cmp_lt_u32 s82, s66                                      // 0000000081E4: BF0A4252
	s_cselect_b32 s20, s36, s60                                // 0000000081E8: 85143C24
	v_readlane_b32 s82, v3, 11                                 // 0000000081EC: D2890052 00011703
	s_and_b32 s82, s82, 0xffffff                               // 0000000081F4: 8652FF52 00FFFFFF
	s_cmp_lt_u32 s82, s66                                      // 0000000081FC: BF0A4252
	s_cselect_b32 s21, s36, s60                                // 000000008200: 85153C24
	s_mov_b64 exec, s[20:21]                                   // 000000008204: BEFE0114
	global_atomic_add_f32 v6, v101, s[8:9]                     // 000000008208: DD348000 00086506
	s_mov_b64 exec, s[36:37]                                   // 000000008210: BEFE0124
	v_mov_b32_e32 v6, v76                                      // 000000008214: 7E0C034C
	s_mov_b64 s[60:61], 0                                      // 000000008218: BEBC0180
	v_readlane_b32 s82, v3, 12                                 // 00000000821C: D2890052 00011903
	s_and_b32 s82, s82, 0xffffff                               // 000000008224: 8652FF52 00FFFFFF
	s_cmp_lt_u32 s82, s66                                      // 00000000822C: BF0A4252
	s_cselect_b32 s20, s36, s60                                // 000000008230: 85143C24
	v_readlane_b32 s82, v3, 13                                 // 000000008234: D2890052 00011B03
	s_and_b32 s82, s82, 0xffffff                               // 00000000823C: 8652FF52 00FFFFFF
	s_cmp_lt_u32 s82, s66                                      // 000000008244: BF0A4252
	s_cselect_b32 s21, s36, s60                                // 000000008248: 85153C24
	s_mov_b64 exec, s[20:21]                                   // 00000000824C: BEFE0114
	global_atomic_add_f32 v6, v104, s[8:9]                     // 000000008250: DD348000 00086806
	s_mov_b64 exec, s[36:37]                                   // 000000008258: BEFE0124
	v_mov_b32_e32 v6, v77                                      // 00000000825C: 7E0C034D
	s_mov_b64 s[60:61], 0                                      // 000000008260: BEBC0180
	v_readlane_b32 s82, v3, 14                                 // 000000008264: D2890052 00011D03
	s_and_b32 s82, s82, 0xffffff                               // 00000000826C: 8652FF52 00FFFFFF
	s_cmp_lt_u32 s82, s66                                      // 000000008274: BF0A4252
	s_cselect_b32 s20, s36, s60                                // 000000008278: 85143C24
	v_readlane_b32 s82, v3, 15                                 // 00000000827C: D2890052 00011F03
	s_and_b32 s82, s82, 0xffffff                               // 000000008284: 8652FF52 00FFFFFF
	s_cmp_lt_u32 s82, s66                                      // 00000000828C: BF0A4252
	s_cselect_b32 s21, s36, s60                                // 000000008290: 85153C24
	s_mov_b64 exec, s[20:21]                                   // 000000008294: BEFE0114
	global_atomic_add_f32 v6, v105, s[8:9]                     // 000000008298: DD348000 00086906
	s_mov_b64 exec, s[36:37]                                   // 0000000082A0: BEFE0124
	v_mov_b32_e32 v6, v78                                      // 0000000082A4: 7E0C034E
	s_mov_b64 s[60:61], 0                                      // 0000000082A8: BEBC0180
	v_readlane_b32 s82, v3, 16                                 // 0000000082AC: D2890052 00012103
	s_and_b32 s82, s82, 0xffffff                               // 0000000082B4: 8652FF52 00FFFFFF
	s_cmp_lt_u32 s82, s66                                      // 0000000082BC: BF0A4252
	s_cselect_b32 s20, s36, s60                                // 0000000082C0: 85143C24
	v_readlane_b32 s82, v3, 17                                 // 0000000082C4: D2890052 00012303
	s_and_b32 s82, s82, 0xffffff                               // 0000000082CC: 8652FF52 00FFFFFF
	s_cmp_lt_u32 s82, s66                                      // 0000000082D4: BF0A4252
	s_cselect_b32 s21, s36, s60                                // 0000000082D8: 85153C24
	s_mov_b64 exec, s[20:21]                                   // 0000000082DC: BEFE0114
	global_atomic_add_f32 v6, v108, s[8:9]                     // 0000000082E0: DD348000 00086C06
	s_mov_b64 exec, s[36:37]                                   // 0000000082E8: BEFE0124
	v_mov_b32_e32 v6, v79                                      // 0000000082EC: 7E0C034F
	s_mov_b64 s[60:61], 0                                      // 0000000082F0: BEBC0180
	v_readlane_b32 s82, v3, 18                                 // 0000000082F4: D2890052 00012503
	s_and_b32 s82, s82, 0xffffff                               // 0000000082FC: 8652FF52 00FFFFFF
	s_cmp_lt_u32 s82, s66                                      // 000000008304: BF0A4252
	s_cselect_b32 s20, s36, s60                                // 000000008308: 85143C24
	v_readlane_b32 s82, v3, 19                                 // 00000000830C: D2890052 00012703
	s_and_b32 s82, s82, 0xffffff                               // 000000008314: 8652FF52 00FFFFFF
	s_cmp_lt_u32 s82, s66                                      // 00000000831C: BF0A4252
	s_cselect_b32 s21, s36, s60                                // 000000008320: 85153C24
	s_mov_b64 exec, s[20:21]                                   // 000000008324: BEFE0114
	global_atomic_add_f32 v6, v109, s[8:9]                     // 000000008328: DD348000 00086D06
	s_mov_b64 exec, s[36:37]                                   // 000000008330: BEFE0124
	v_mov_b32_e32 v6, v80                                      // 000000008334: 7E0C0350
	s_mov_b64 s[60:61], 0                                      // 000000008338: BEBC0180
	v_readlane_b32 s82, v3, 20                                 // 00000000833C: D2890052 00012903
	s_and_b32 s82, s82, 0xffffff                               // 000000008344: 8652FF52 00FFFFFF
	s_cmp_lt_u32 s82, s66                                      // 00000000834C: BF0A4252
	s_cselect_b32 s20, s36, s60                                // 000000008350: 85143C24
	v_readlane_b32 s82, v3, 21                                 // 000000008354: D2890052 00012B03
	s_and_b32 s82, s82, 0xffffff                               // 00000000835C: 8652FF52 00FFFFFF
	s_cmp_lt_u32 s82, s66                                      // 000000008364: BF0A4252
	s_cselect_b32 s21, s36, s60                                // 000000008368: 85153C24
	s_mov_b64 exec, s[20:21]                                   // 00000000836C: BEFE0114
	global_atomic_add_f32 v6, v112, s[8:9]                     // 000000008370: DD348000 00087006
	s_mov_b64 exec, s[36:37]                                   // 000000008378: BEFE0124
	v_mov_b32_e32 v6, v81                                      // 00000000837C: 7E0C0351
	s_mov_b64 s[60:61], 0                                      // 000000008380: BEBC0180
	v_readlane_b32 s82, v3, 22                                 // 000000008384: D2890052 00012D03
	s_and_b32 s82, s82, 0xffffff                               // 00000000838C: 8652FF52 00FFFFFF
	s_cmp_lt_u32 s82, s66                                      // 000000008394: BF0A4252
	s_cselect_b32 s20, s36, s60                                // 000000008398: 85143C24
	v_readlane_b32 s82, v3, 23                                 // 00000000839C: D2890052 00012F03
	s_and_b32 s82, s82, 0xffffff                               // 0000000083A4: 8652FF52 00FFFFFF
	s_cmp_lt_u32 s82, s66                                      // 0000000083AC: BF0A4252
	s_cselect_b32 s21, s36, s60                                // 0000000083B0: 85153C24
	s_mov_b64 exec, s[20:21]                                   // 0000000083B4: BEFE0114
	global_atomic_add_f32 v6, v113, s[8:9]                     // 0000000083B8: DD348000 00087106
	s_mov_b64 exec, s[36:37]                                   // 0000000083C0: BEFE0124
	v_mov_b32_e32 v6, v82                                      // 0000000083C4: 7E0C0352
	s_mov_b64 s[60:61], 0                                      // 0000000083C8: BEBC0180
	v_readlane_b32 s82, v3, 24                                 // 0000000083CC: D2890052 00013103
	s_and_b32 s82, s82, 0xffffff                               // 0000000083D4: 8652FF52 00FFFFFF
	s_cmp_lt_u32 s82, s66                                      // 0000000083DC: BF0A4252
	s_cselect_b32 s20, s36, s60                                // 0000000083E0: 85143C24
	v_readlane_b32 s82, v3, 25                                 // 0000000083E4: D2890052 00013303
	s_and_b32 s82, s82, 0xffffff                               // 0000000083EC: 8652FF52 00FFFFFF
	s_cmp_lt_u32 s82, s66                                      // 0000000083F4: BF0A4252
	s_cselect_b32 s21, s36, s60                                // 0000000083F8: 85153C24
	s_mov_b64 exec, s[20:21]                                   // 0000000083FC: BEFE0114
	global_atomic_add_f32 v6, v116, s[8:9]                     // 000000008400: DD348000 00087406
	s_mov_b64 exec, s[36:37]                                   // 000000008408: BEFE0124
	v_mov_b32_e32 v6, v83                                      // 00000000840C: 7E0C0353
	s_mov_b64 s[60:61], 0                                      // 000000008410: BEBC0180
	v_readlane_b32 s82, v3, 26                                 // 000000008414: D2890052 00013503
	s_and_b32 s82, s82, 0xffffff                               // 00000000841C: 8652FF52 00FFFFFF
	s_cmp_lt_u32 s82, s66                                      // 000000008424: BF0A4252
	s_cselect_b32 s20, s36, s60                                // 000000008428: 85143C24
	v_readlane_b32 s82, v3, 27                                 // 00000000842C: D2890052 00013703
	s_and_b32 s82, s82, 0xffffff                               // 000000008434: 8652FF52 00FFFFFF
	s_cmp_lt_u32 s82, s66                                      // 00000000843C: BF0A4252
	s_cselect_b32 s21, s36, s60                                // 000000008440: 85153C24
	s_mov_b64 exec, s[20:21]                                   // 000000008444: BEFE0114
	global_atomic_add_f32 v6, v117, s[8:9]                     // 000000008448: DD348000 00087506
	s_mov_b64 exec, s[36:37]                                   // 000000008450: BEFE0124
	v_mov_b32_e32 v6, v84                                      // 000000008454: 7E0C0354
	s_mov_b64 s[60:61], 0                                      // 000000008458: BEBC0180
	v_readlane_b32 s82, v3, 28                                 // 00000000845C: D2890052 00013903
	s_and_b32 s82, s82, 0xffffff                               // 000000008464: 8652FF52 00FFFFFF
	s_cmp_lt_u32 s82, s66                                      // 00000000846C: BF0A4252
	s_cselect_b32 s20, s36, s60                                // 000000008470: 85143C24
	v_readlane_b32 s82, v3, 29                                 // 000000008474: D2890052 00013B03
	s_and_b32 s82, s82, 0xffffff                               // 00000000847C: 8652FF52 00FFFFFF
	s_cmp_lt_u32 s82, s66                                      // 000000008484: BF0A4252
	s_cselect_b32 s21, s36, s60                                // 000000008488: 85153C24
	s_mov_b64 exec, s[20:21]                                   // 00000000848C: BEFE0114
	global_atomic_add_f32 v6, v120, s[8:9]                     // 000000008490: DD348000 00087806
	s_mov_b64 exec, s[36:37]                                   // 000000008498: BEFE0124
	v_mov_b32_e32 v6, v85                                      // 00000000849C: 7E0C0355
	s_mov_b64 s[60:61], 0                                      // 0000000084A0: BEBC0180
	v_readlane_b32 s82, v3, 30                                 // 0000000084A4: D2890052 00013D03
	s_and_b32 s82, s82, 0xffffff                               // 0000000084AC: 8652FF52 00FFFFFF
	s_cmp_lt_u32 s82, s66                                      // 0000000084B4: BF0A4252
	s_cselect_b32 s20, s36, s60                                // 0000000084B8: 85143C24
	v_readlane_b32 s82, v3, 31                                 // 0000000084BC: D2890052 00013F03
	s_and_b32 s82, s82, 0xffffff                               // 0000000084C4: 8652FF52 00FFFFFF
	s_cmp_lt_u32 s82, s66                                      // 0000000084CC: BF0A4252
	s_cselect_b32 s21, s36, s60                                // 0000000084D0: 85153C24
	s_mov_b64 exec, s[20:21]                                   // 0000000084D4: BEFE0114
	global_atomic_add_f32 v6, v121, s[8:9]                     // 0000000084D8: DD348000 00087906
	s_mov_b64 exec, s[36:37]                                   // 0000000084E0: BEFE0124
	v_mov_b32_e32 v6, v86                                      // 0000000084E4: 7E0C0356
	s_mov_b64 s[60:61], 0                                      // 0000000084E8: BEBC0180
	v_readlane_b32 s82, v3, 32                                 // 0000000084EC: D2890052 00014103
	s_and_b32 s82, s82, 0xffffff                               // 0000000084F4: 8652FF52 00FFFFFF
	s_cmp_lt_u32 s82, s66                                      // 0000000084FC: BF0A4252
	s_cselect_b32 s20, s36, s60                                // 000000008500: 85143C24
	v_readlane_b32 s82, v3, 33                                 // 000000008504: D2890052 00014303
	s_and_b32 s82, s82, 0xffffff                               // 00000000850C: 8652FF52 00FFFFFF
	s_cmp_lt_u32 s82, s66                                      // 000000008514: BF0A4252
	s_cselect_b32 s21, s36, s60                                // 000000008518: 85153C24
	s_mov_b64 exec, s[20:21]                                   // 00000000851C: BEFE0114
	global_atomic_add_f32 v6, v124, s[8:9]                     // 000000008520: DD348000 00087C06
	s_mov_b64 exec, s[36:37]                                   // 000000008528: BEFE0124
	v_mov_b32_e32 v6, v87                                      // 00000000852C: 7E0C0357
	s_mov_b64 s[60:61], 0                                      // 000000008530: BEBC0180
	v_readlane_b32 s82, v3, 34                                 // 000000008534: D2890052 00014503
	s_and_b32 s82, s82, 0xffffff                               // 00000000853C: 8652FF52 00FFFFFF
	s_cmp_lt_u32 s82, s66                                      // 000000008544: BF0A4252
	s_cselect_b32 s20, s36, s60                                // 000000008548: 85143C24
	v_readlane_b32 s82, v3, 35                                 // 00000000854C: D2890052 00014703
	s_and_b32 s82, s82, 0xffffff                               // 000000008554: 8652FF52 00FFFFFF
	s_cmp_lt_u32 s82, s66                                      // 00000000855C: BF0A4252
	s_cselect_b32 s21, s36, s60                                // 000000008560: 85153C24
	s_mov_b64 exec, s[20:21]                                   // 000000008564: BEFE0114
	global_atomic_add_f32 v6, v125, s[8:9]                     // 000000008568: DD348000 00087D06
	s_mov_b64 exec, s[36:37]                                   // 000000008570: BEFE0124
	v_mov_b32_e32 v6, v88                                      // 000000008574: 7E0C0358
	s_mov_b64 s[60:61], 0                                      // 000000008578: BEBC0180
	v_readlane_b32 s82, v3, 36                                 // 00000000857C: D2890052 00014903
	s_and_b32 s82, s82, 0xffffff                               // 000000008584: 8652FF52 00FFFFFF
	s_cmp_lt_u32 s82, s66                                      // 00000000858C: BF0A4252
	s_cselect_b32 s20, s36, s60                                // 000000008590: 85143C24
	v_readlane_b32 s82, v3, 37                                 // 000000008594: D2890052 00014B03
	s_and_b32 s82, s82, 0xffffff                               // 00000000859C: 8652FF52 00FFFFFF
	s_cmp_lt_u32 s82, s66                                      // 0000000085A4: BF0A4252
	s_cselect_b32 s21, s36, s60                                // 0000000085A8: 85153C24
	s_mov_b64 exec, s[20:21]                                   // 0000000085AC: BEFE0114
	global_atomic_add_f32 v6, v128, s[8:9]                     // 0000000085B0: DD348000 00088006
	s_mov_b64 exec, s[36:37]                                   // 0000000085B8: BEFE0124
	v_mov_b32_e32 v6, v89                                      // 0000000085BC: 7E0C0359
	s_mov_b64 s[60:61], 0                                      // 0000000085C0: BEBC0180
	v_readlane_b32 s82, v3, 38                                 // 0000000085C4: D2890052 00014D03
	s_and_b32 s82, s82, 0xffffff                               // 0000000085CC: 8652FF52 00FFFFFF
	s_cmp_lt_u32 s82, s66                                      // 0000000085D4: BF0A4252
	s_cselect_b32 s20, s36, s60                                // 0000000085D8: 85143C24
	v_readlane_b32 s82, v3, 39                                 // 0000000085DC: D2890052 00014F03
	s_and_b32 s82, s82, 0xffffff                               // 0000000085E4: 8652FF52 00FFFFFF
	s_cmp_lt_u32 s82, s66                                      // 0000000085EC: BF0A4252
	s_cselect_b32 s21, s36, s60                                // 0000000085F0: 85153C24
	s_mov_b64 exec, s[20:21]                                   // 0000000085F4: BEFE0114
	global_atomic_add_f32 v6, v129, s[8:9]                     // 0000000085F8: DD348000 00088106
	s_mov_b64 exec, s[36:37]                                   // 000000008600: BEFE0124
	ds_write_b64 v20, v[94:95]                                 // 000000008604: D89A0000 00005E14
	ds_write_b64 v20, v[98:99] offset:2176                     // 00000000860C: D89A0880 00006214
	ds_write_b64 v20, v[102:103] offset:4352                   // 000000008614: D89A1100 00006614
	ds_write_b64 v20, v[106:107] offset:6528                   // 00000000861C: D89A1980 00006A14
	ds_write_b64 v20, v[110:111] offset:8704                   // 000000008624: D89A2200 00006E14
	ds_write_b64 v20, v[114:115] offset:10880                  // 00000000862C: D89A2A80 00007214
	ds_write_b64 v20, v[118:119] offset:13056                  // 000000008634: D89A3300 00007614
	ds_write_b64 v20, v[122:123] offset:15232                  // 00000000863C: D89A3B80 00007A14
	ds_write_b64 v20, v[126:127] offset:17408                  // 000000008644: D89A4400 00007E14
	ds_write_b64 v20, v[130:131] offset:19584                  // 00000000864C: D89A4C80 00008214
	s_waitcnt lgkmcnt(0)                                       // 000000008654: BF8CC07F
	s_barrier                                                  // 000000008658: BF8A0000
	ds_read_b32 v94, v21                                       // 00000000865C: D86C0000 5E000015
	ds_read_b32 v95, v21 offset:64                             // 000000008664: D86C0040 5F000015
	ds_read_b32 v98, v21 offset:2176                           // 00000000866C: D86C0880 62000015
	ds_read_b32 v99, v21 offset:2240                           // 000000008674: D86C08C0 63000015
	ds_read_b32 v102, v21 offset:4352                          // 00000000867C: D86C1100 66000015
	ds_read_b32 v103, v21 offset:4416                          // 000000008684: D86C1140 67000015
	ds_read_b32 v106, v21 offset:6528                          // 00000000868C: D86C1980 6A000015
	ds_read_b32 v107, v21 offset:6592                          // 000000008694: D86C19C0 6B000015
	ds_read_b32 v110, v21 offset:8704                          // 00000000869C: D86C2200 6E000015
	ds_read_b32 v111, v21 offset:8768                          // 0000000086A4: D86C2240 6F000015
	ds_read_b32 v114, v21 offset:10880                         // 0000000086AC: D86C2A80 72000015
	ds_read_b32 v115, v21 offset:10944                         // 0000000086B4: D86C2AC0 73000015
	ds_read_b32 v118, v21 offset:13056                         // 0000000086BC: D86C3300 76000015
	ds_read_b32 v119, v21 offset:13120                         // 0000000086C4: D86C3340 77000015
	ds_read_b32 v122, v21 offset:15232                         // 0000000086CC: D86C3B80 7A000015
	ds_read_b32 v123, v21 offset:15296                         // 0000000086D4: D86C3BC0 7B000015
	ds_read_b32 v126, v21 offset:17408                         // 0000000086DC: D86C4400 7E000015
	ds_read_b32 v127, v21 offset:17472                         // 0000000086E4: D86C4440 7F000015
	ds_read_b32 v130, v21 offset:19584                         // 0000000086EC: D86C4C80 82000015
	ds_read_b32 v131, v21 offset:19648                         // 0000000086F4: D86C4CC0 83000015
	s_waitcnt lgkmcnt(0)                                       // 0000000086FC: BF8CC07F
	v_mov_b32_e32 v7, 0                                        // 000000008700: 7E0E0280
	s_mov_b64 exec, s[36:37]                                   // 000000008704: BEFE0124
	v_mov_b32_e32 v6, v70                                      // 000000008708: 7E0C0346
	s_mov_b64 s[60:61], 0                                      // 00000000870C: BEBC0180
	v_readlane_b32 s82, v3, 0                                  // 000000008710: D2890052 00010103
	s_and_b32 s82, s82, 0xffffff                               // 000000008718: 8652FF52 00FFFFFF
	s_cmp_lt_u32 s82, s66                                      // 000000008720: BF0A4252
	s_cselect_b32 s20, s36, s60                                // 000000008724: 85143C24
	v_readlane_b32 s82, v3, 1                                  // 000000008728: D2890052 00010303
	s_and_b32 s82, s82, 0xffffff                               // 000000008730: 8652FF52 00FFFFFF
	s_cmp_lt_u32 s82, s66                                      // 000000008738: BF0A4252
	s_cselect_b32 s21, s36, s60                                // 00000000873C: 85153C24
	s_mov_b64 exec, s[20:21]                                   // 000000008740: BEFE0114
	global_atomic_add_f32 v6, v94, s[8:9] offset:8             // 000000008744: DD348008 00085E06
	s_mov_b64 exec, s[36:37]                                   // 00000000874C: BEFE0124
	v_mov_b32_e32 v6, v71                                      // 000000008750: 7E0C0347
	s_mov_b64 s[60:61], 0                                      // 000000008754: BEBC0180
	v_readlane_b32 s82, v3, 2                                  // 000000008758: D2890052 00010503
	s_and_b32 s82, s82, 0xffffff                               // 000000008760: 8652FF52 00FFFFFF
	s_cmp_lt_u32 s82, s66                                      // 000000008768: BF0A4252
	s_cselect_b32 s20, s36, s60                                // 00000000876C: 85143C24
	v_readlane_b32 s82, v3, 3                                  // 000000008770: D2890052 00010703
	s_and_b32 s82, s82, 0xffffff                               // 000000008778: 8652FF52 00FFFFFF
	s_cmp_lt_u32 s82, s66                                      // 000000008780: BF0A4252
	s_cselect_b32 s21, s36, s60                                // 000000008784: 85153C24
	s_mov_b64 exec, s[20:21]                                   // 000000008788: BEFE0114
	global_atomic_add_f32 v6, v95, s[8:9] offset:8             // 00000000878C: DD348008 00085F06
	s_mov_b64 exec, s[36:37]                                   // 000000008794: BEFE0124
	v_mov_b32_e32 v6, v72                                      // 000000008798: 7E0C0348
	s_mov_b64 s[60:61], 0                                      // 00000000879C: BEBC0180
	v_readlane_b32 s82, v3, 4                                  // 0000000087A0: D2890052 00010903
	s_and_b32 s82, s82, 0xffffff                               // 0000000087A8: 8652FF52 00FFFFFF
	s_cmp_lt_u32 s82, s66                                      // 0000000087B0: BF0A4252
	s_cselect_b32 s20, s36, s60                                // 0000000087B4: 85143C24
	v_readlane_b32 s82, v3, 5                                  // 0000000087B8: D2890052 00010B03
	s_and_b32 s82, s82, 0xffffff                               // 0000000087C0: 8652FF52 00FFFFFF
	s_cmp_lt_u32 s82, s66                                      // 0000000087C8: BF0A4252
	s_cselect_b32 s21, s36, s60                                // 0000000087CC: 85153C24
	s_mov_b64 exec, s[20:21]                                   // 0000000087D0: BEFE0114
	global_atomic_add_f32 v6, v98, s[8:9] offset:8             // 0000000087D4: DD348008 00086206
	s_mov_b64 exec, s[36:37]                                   // 0000000087DC: BEFE0124
	v_mov_b32_e32 v6, v73                                      // 0000000087E0: 7E0C0349
	s_mov_b64 s[60:61], 0                                      // 0000000087E4: BEBC0180
	v_readlane_b32 s82, v3, 6                                  // 0000000087E8: D2890052 00010D03
	s_and_b32 s82, s82, 0xffffff                               // 0000000087F0: 8652FF52 00FFFFFF
	s_cmp_lt_u32 s82, s66                                      // 0000000087F8: BF0A4252
	s_cselect_b32 s20, s36, s60                                // 0000000087FC: 85143C24
	v_readlane_b32 s82, v3, 7                                  // 000000008800: D2890052 00010F03
	s_and_b32 s82, s82, 0xffffff                               // 000000008808: 8652FF52 00FFFFFF
	s_cmp_lt_u32 s82, s66                                      // 000000008810: BF0A4252
	s_cselect_b32 s21, s36, s60                                // 000000008814: 85153C24
	s_mov_b64 exec, s[20:21]                                   // 000000008818: BEFE0114
	global_atomic_add_f32 v6, v99, s[8:9] offset:8             // 00000000881C: DD348008 00086306
	s_mov_b64 exec, s[36:37]                                   // 000000008824: BEFE0124
	v_mov_b32_e32 v6, v74                                      // 000000008828: 7E0C034A
	s_mov_b64 s[60:61], 0                                      // 00000000882C: BEBC0180
	v_readlane_b32 s82, v3, 8                                  // 000000008830: D2890052 00011103
	s_and_b32 s82, s82, 0xffffff                               // 000000008838: 8652FF52 00FFFFFF
	s_cmp_lt_u32 s82, s66                                      // 000000008840: BF0A4252
	s_cselect_b32 s20, s36, s60                                // 000000008844: 85143C24
	v_readlane_b32 s82, v3, 9                                  // 000000008848: D2890052 00011303
	s_and_b32 s82, s82, 0xffffff                               // 000000008850: 8652FF52 00FFFFFF
	s_cmp_lt_u32 s82, s66                                      // 000000008858: BF0A4252
	s_cselect_b32 s21, s36, s60                                // 00000000885C: 85153C24
	s_mov_b64 exec, s[20:21]                                   // 000000008860: BEFE0114
	global_atomic_add_f32 v6, v102, s[8:9] offset:8            // 000000008864: DD348008 00086606
	s_mov_b64 exec, s[36:37]                                   // 00000000886C: BEFE0124
	v_mov_b32_e32 v6, v75                                      // 000000008870: 7E0C034B
	s_mov_b64 s[60:61], 0                                      // 000000008874: BEBC0180
	v_readlane_b32 s82, v3, 10                                 // 000000008878: D2890052 00011503
	s_and_b32 s82, s82, 0xffffff                               // 000000008880: 8652FF52 00FFFFFF
	s_cmp_lt_u32 s82, s66                                      // 000000008888: BF0A4252
	s_cselect_b32 s20, s36, s60                                // 00000000888C: 85143C24
	v_readlane_b32 s82, v3, 11                                 // 000000008890: D2890052 00011703
	s_and_b32 s82, s82, 0xffffff                               // 000000008898: 8652FF52 00FFFFFF
	s_cmp_lt_u32 s82, s66                                      // 0000000088A0: BF0A4252
	s_cselect_b32 s21, s36, s60                                // 0000000088A4: 85153C24
	s_mov_b64 exec, s[20:21]                                   // 0000000088A8: BEFE0114
	global_atomic_add_f32 v6, v103, s[8:9] offset:8            // 0000000088AC: DD348008 00086706
	s_mov_b64 exec, s[36:37]                                   // 0000000088B4: BEFE0124
	v_mov_b32_e32 v6, v76                                      // 0000000088B8: 7E0C034C
	s_mov_b64 s[60:61], 0                                      // 0000000088BC: BEBC0180
	v_readlane_b32 s82, v3, 12                                 // 0000000088C0: D2890052 00011903
	s_and_b32 s82, s82, 0xffffff                               // 0000000088C8: 8652FF52 00FFFFFF
	s_cmp_lt_u32 s82, s66                                      // 0000000088D0: BF0A4252
	s_cselect_b32 s20, s36, s60                                // 0000000088D4: 85143C24
	v_readlane_b32 s82, v3, 13                                 // 0000000088D8: D2890052 00011B03
	s_and_b32 s82, s82, 0xffffff                               // 0000000088E0: 8652FF52 00FFFFFF
	s_cmp_lt_u32 s82, s66                                      // 0000000088E8: BF0A4252
	s_cselect_b32 s21, s36, s60                                // 0000000088EC: 85153C24
	s_mov_b64 exec, s[20:21]                                   // 0000000088F0: BEFE0114
	global_atomic_add_f32 v6, v106, s[8:9] offset:8            // 0000000088F4: DD348008 00086A06
	s_mov_b64 exec, s[36:37]                                   // 0000000088FC: BEFE0124
	v_mov_b32_e32 v6, v77                                      // 000000008900: 7E0C034D
	s_mov_b64 s[60:61], 0                                      // 000000008904: BEBC0180
	v_readlane_b32 s82, v3, 14                                 // 000000008908: D2890052 00011D03
	s_and_b32 s82, s82, 0xffffff                               // 000000008910: 8652FF52 00FFFFFF
	s_cmp_lt_u32 s82, s66                                      // 000000008918: BF0A4252
	s_cselect_b32 s20, s36, s60                                // 00000000891C: 85143C24
	v_readlane_b32 s82, v3, 15                                 // 000000008920: D2890052 00011F03
	s_and_b32 s82, s82, 0xffffff                               // 000000008928: 8652FF52 00FFFFFF
	s_cmp_lt_u32 s82, s66                                      // 000000008930: BF0A4252
	s_cselect_b32 s21, s36, s60                                // 000000008934: 85153C24
	s_mov_b64 exec, s[20:21]                                   // 000000008938: BEFE0114
	global_atomic_add_f32 v6, v107, s[8:9] offset:8            // 00000000893C: DD348008 00086B06
	s_mov_b64 exec, s[36:37]                                   // 000000008944: BEFE0124
	v_mov_b32_e32 v6, v78                                      // 000000008948: 7E0C034E
	s_mov_b64 s[60:61], 0                                      // 00000000894C: BEBC0180
	v_readlane_b32 s82, v3, 16                                 // 000000008950: D2890052 00012103
	s_and_b32 s82, s82, 0xffffff                               // 000000008958: 8652FF52 00FFFFFF
	s_cmp_lt_u32 s82, s66                                      // 000000008960: BF0A4252
	s_cselect_b32 s20, s36, s60                                // 000000008964: 85143C24
	v_readlane_b32 s82, v3, 17                                 // 000000008968: D2890052 00012303
	s_and_b32 s82, s82, 0xffffff                               // 000000008970: 8652FF52 00FFFFFF
	s_cmp_lt_u32 s82, s66                                      // 000000008978: BF0A4252
	s_cselect_b32 s21, s36, s60                                // 00000000897C: 85153C24
	s_mov_b64 exec, s[20:21]                                   // 000000008980: BEFE0114
	global_atomic_add_f32 v6, v110, s[8:9] offset:8            // 000000008984: DD348008 00086E06
	s_mov_b64 exec, s[36:37]                                   // 00000000898C: BEFE0124
	v_mov_b32_e32 v6, v79                                      // 000000008990: 7E0C034F
	s_mov_b64 s[60:61], 0                                      // 000000008994: BEBC0180
	v_readlane_b32 s82, v3, 18                                 // 000000008998: D2890052 00012503
	s_and_b32 s82, s82, 0xffffff                               // 0000000089A0: 8652FF52 00FFFFFF
	s_cmp_lt_u32 s82, s66                                      // 0000000089A8: BF0A4252
	s_cselect_b32 s20, s36, s60                                // 0000000089AC: 85143C24
	v_readlane_b32 s82, v3, 19                                 // 0000000089B0: D2890052 00012703
	s_and_b32 s82, s82, 0xffffff                               // 0000000089B8: 8652FF52 00FFFFFF
	s_cmp_lt_u32 s82, s66                                      // 0000000089C0: BF0A4252
	s_cselect_b32 s21, s36, s60                                // 0000000089C4: 85153C24
	s_mov_b64 exec, s[20:21]                                   // 0000000089C8: BEFE0114
	global_atomic_add_f32 v6, v111, s[8:9] offset:8            // 0000000089CC: DD348008 00086F06
	s_mov_b64 exec, s[36:37]                                   // 0000000089D4: BEFE0124
	v_mov_b32_e32 v6, v80                                      // 0000000089D8: 7E0C0350
	s_mov_b64 s[60:61], 0                                      // 0000000089DC: BEBC0180
	v_readlane_b32 s82, v3, 20                                 // 0000000089E0: D2890052 00012903
	s_and_b32 s82, s82, 0xffffff                               // 0000000089E8: 8652FF52 00FFFFFF
	s_cmp_lt_u32 s82, s66                                      // 0000000089F0: BF0A4252
	s_cselect_b32 s20, s36, s60                                // 0000000089F4: 85143C24
	v_readlane_b32 s82, v3, 21                                 // 0000000089F8: D2890052 00012B03
	s_and_b32 s82, s82, 0xffffff                               // 000000008A00: 8652FF52 00FFFFFF
	s_cmp_lt_u32 s82, s66                                      // 000000008A08: BF0A4252
	s_cselect_b32 s21, s36, s60                                // 000000008A0C: 85153C24
	s_mov_b64 exec, s[20:21]                                   // 000000008A10: BEFE0114
	global_atomic_add_f32 v6, v114, s[8:9] offset:8            // 000000008A14: DD348008 00087206
	s_mov_b64 exec, s[36:37]                                   // 000000008A1C: BEFE0124
	v_mov_b32_e32 v6, v81                                      // 000000008A20: 7E0C0351
	s_mov_b64 s[60:61], 0                                      // 000000008A24: BEBC0180
	v_readlane_b32 s82, v3, 22                                 // 000000008A28: D2890052 00012D03
	s_and_b32 s82, s82, 0xffffff                               // 000000008A30: 8652FF52 00FFFFFF
	s_cmp_lt_u32 s82, s66                                      // 000000008A38: BF0A4252
	s_cselect_b32 s20, s36, s60                                // 000000008A3C: 85143C24
	v_readlane_b32 s82, v3, 23                                 // 000000008A40: D2890052 00012F03
	s_and_b32 s82, s82, 0xffffff                               // 000000008A48: 8652FF52 00FFFFFF
	s_cmp_lt_u32 s82, s66                                      // 000000008A50: BF0A4252
	s_cselect_b32 s21, s36, s60                                // 000000008A54: 85153C24
	s_mov_b64 exec, s[20:21]                                   // 000000008A58: BEFE0114
	global_atomic_add_f32 v6, v115, s[8:9] offset:8            // 000000008A5C: DD348008 00087306
	s_mov_b64 exec, s[36:37]                                   // 000000008A64: BEFE0124
	v_mov_b32_e32 v6, v82                                      // 000000008A68: 7E0C0352
	s_mov_b64 s[60:61], 0                                      // 000000008A6C: BEBC0180
	v_readlane_b32 s82, v3, 24                                 // 000000008A70: D2890052 00013103
	s_and_b32 s82, s82, 0xffffff                               // 000000008A78: 8652FF52 00FFFFFF
	s_cmp_lt_u32 s82, s66                                      // 000000008A80: BF0A4252
	s_cselect_b32 s20, s36, s60                                // 000000008A84: 85143C24
	v_readlane_b32 s82, v3, 25                                 // 000000008A88: D2890052 00013303
	s_and_b32 s82, s82, 0xffffff                               // 000000008A90: 8652FF52 00FFFFFF
	s_cmp_lt_u32 s82, s66                                      // 000000008A98: BF0A4252
	s_cselect_b32 s21, s36, s60                                // 000000008A9C: 85153C24
	s_mov_b64 exec, s[20:21]                                   // 000000008AA0: BEFE0114
	global_atomic_add_f32 v6, v118, s[8:9] offset:8            // 000000008AA4: DD348008 00087606
	s_mov_b64 exec, s[36:37]                                   // 000000008AAC: BEFE0124
	v_mov_b32_e32 v6, v83                                      // 000000008AB0: 7E0C0353
	s_mov_b64 s[60:61], 0                                      // 000000008AB4: BEBC0180
	v_readlane_b32 s82, v3, 26                                 // 000000008AB8: D2890052 00013503
	s_and_b32 s82, s82, 0xffffff                               // 000000008AC0: 8652FF52 00FFFFFF
	s_cmp_lt_u32 s82, s66                                      // 000000008AC8: BF0A4252
	s_cselect_b32 s20, s36, s60                                // 000000008ACC: 85143C24
	v_readlane_b32 s82, v3, 27                                 // 000000008AD0: D2890052 00013703
	s_and_b32 s82, s82, 0xffffff                               // 000000008AD8: 8652FF52 00FFFFFF
	s_cmp_lt_u32 s82, s66                                      // 000000008AE0: BF0A4252
	s_cselect_b32 s21, s36, s60                                // 000000008AE4: 85153C24
	s_mov_b64 exec, s[20:21]                                   // 000000008AE8: BEFE0114
	global_atomic_add_f32 v6, v119, s[8:9] offset:8            // 000000008AEC: DD348008 00087706
	s_mov_b64 exec, s[36:37]                                   // 000000008AF4: BEFE0124
	v_mov_b32_e32 v6, v84                                      // 000000008AF8: 7E0C0354
	s_mov_b64 s[60:61], 0                                      // 000000008AFC: BEBC0180
	v_readlane_b32 s82, v3, 28                                 // 000000008B00: D2890052 00013903
	s_and_b32 s82, s82, 0xffffff                               // 000000008B08: 8652FF52 00FFFFFF
	s_cmp_lt_u32 s82, s66                                      // 000000008B10: BF0A4252
	s_cselect_b32 s20, s36, s60                                // 000000008B14: 85143C24
	v_readlane_b32 s82, v3, 29                                 // 000000008B18: D2890052 00013B03
	s_and_b32 s82, s82, 0xffffff                               // 000000008B20: 8652FF52 00FFFFFF
	s_cmp_lt_u32 s82, s66                                      // 000000008B28: BF0A4252
	s_cselect_b32 s21, s36, s60                                // 000000008B2C: 85153C24
	s_mov_b64 exec, s[20:21]                                   // 000000008B30: BEFE0114
	global_atomic_add_f32 v6, v122, s[8:9] offset:8            // 000000008B34: DD348008 00087A06
	s_mov_b64 exec, s[36:37]                                   // 000000008B3C: BEFE0124
	v_mov_b32_e32 v6, v85                                      // 000000008B40: 7E0C0355
	s_mov_b64 s[60:61], 0                                      // 000000008B44: BEBC0180
	v_readlane_b32 s82, v3, 30                                 // 000000008B48: D2890052 00013D03
	s_and_b32 s82, s82, 0xffffff                               // 000000008B50: 8652FF52 00FFFFFF
	s_cmp_lt_u32 s82, s66                                      // 000000008B58: BF0A4252
	s_cselect_b32 s20, s36, s60                                // 000000008B5C: 85143C24
	v_readlane_b32 s82, v3, 31                                 // 000000008B60: D2890052 00013F03
	s_and_b32 s82, s82, 0xffffff                               // 000000008B68: 8652FF52 00FFFFFF
	s_cmp_lt_u32 s82, s66                                      // 000000008B70: BF0A4252
	s_cselect_b32 s21, s36, s60                                // 000000008B74: 85153C24
	s_mov_b64 exec, s[20:21]                                   // 000000008B78: BEFE0114
	global_atomic_add_f32 v6, v123, s[8:9] offset:8            // 000000008B7C: DD348008 00087B06
	s_mov_b64 exec, s[36:37]                                   // 000000008B84: BEFE0124
	v_mov_b32_e32 v6, v86                                      // 000000008B88: 7E0C0356
	s_mov_b64 s[60:61], 0                                      // 000000008B8C: BEBC0180
	v_readlane_b32 s82, v3, 32                                 // 000000008B90: D2890052 00014103
	s_and_b32 s82, s82, 0xffffff                               // 000000008B98: 8652FF52 00FFFFFF
	s_cmp_lt_u32 s82, s66                                      // 000000008BA0: BF0A4252
	s_cselect_b32 s20, s36, s60                                // 000000008BA4: 85143C24
	v_readlane_b32 s82, v3, 33                                 // 000000008BA8: D2890052 00014303
	s_and_b32 s82, s82, 0xffffff                               // 000000008BB0: 8652FF52 00FFFFFF
	s_cmp_lt_u32 s82, s66                                      // 000000008BB8: BF0A4252
	s_cselect_b32 s21, s36, s60                                // 000000008BBC: 85153C24
	s_mov_b64 exec, s[20:21]                                   // 000000008BC0: BEFE0114
	global_atomic_add_f32 v6, v126, s[8:9] offset:8            // 000000008BC4: DD348008 00087E06
	s_mov_b64 exec, s[36:37]                                   // 000000008BCC: BEFE0124
	v_mov_b32_e32 v6, v87                                      // 000000008BD0: 7E0C0357
	s_mov_b64 s[60:61], 0                                      // 000000008BD4: BEBC0180
	v_readlane_b32 s82, v3, 34                                 // 000000008BD8: D2890052 00014503
	s_and_b32 s82, s82, 0xffffff                               // 000000008BE0: 8652FF52 00FFFFFF
	s_cmp_lt_u32 s82, s66                                      // 000000008BE8: BF0A4252
	s_cselect_b32 s20, s36, s60                                // 000000008BEC: 85143C24
	v_readlane_b32 s82, v3, 35                                 // 000000008BF0: D2890052 00014703
	s_and_b32 s82, s82, 0xffffff                               // 000000008BF8: 8652FF52 00FFFFFF
	s_cmp_lt_u32 s82, s66                                      // 000000008C00: BF0A4252
	s_cselect_b32 s21, s36, s60                                // 000000008C04: 85153C24
	s_mov_b64 exec, s[20:21]                                   // 000000008C08: BEFE0114
	global_atomic_add_f32 v6, v127, s[8:9] offset:8            // 000000008C0C: DD348008 00087F06
	s_mov_b64 exec, s[36:37]                                   // 000000008C14: BEFE0124
	v_mov_b32_e32 v6, v88                                      // 000000008C18: 7E0C0358
	s_mov_b64 s[60:61], 0                                      // 000000008C1C: BEBC0180
	v_readlane_b32 s82, v3, 36                                 // 000000008C20: D2890052 00014903
	s_and_b32 s82, s82, 0xffffff                               // 000000008C28: 8652FF52 00FFFFFF
	s_cmp_lt_u32 s82, s66                                      // 000000008C30: BF0A4252
	s_cselect_b32 s20, s36, s60                                // 000000008C34: 85143C24
	v_readlane_b32 s82, v3, 37                                 // 000000008C38: D2890052 00014B03
	s_and_b32 s82, s82, 0xffffff                               // 000000008C40: 8652FF52 00FFFFFF
	s_cmp_lt_u32 s82, s66                                      // 000000008C48: BF0A4252
	s_cselect_b32 s21, s36, s60                                // 000000008C4C: 85153C24
	s_mov_b64 exec, s[20:21]                                   // 000000008C50: BEFE0114
	global_atomic_add_f32 v6, v130, s[8:9] offset:8            // 000000008C54: DD348008 00088206
	s_mov_b64 exec, s[36:37]                                   // 000000008C5C: BEFE0124
	v_mov_b32_e32 v6, v89                                      // 000000008C60: 7E0C0359
	s_mov_b64 s[60:61], 0                                      // 000000008C64: BEBC0180
	v_readlane_b32 s82, v3, 38                                 // 000000008C68: D2890052 00014D03
	s_and_b32 s82, s82, 0xffffff                               // 000000008C70: 8652FF52 00FFFFFF
	s_cmp_lt_u32 s82, s66                                      // 000000008C78: BF0A4252
	s_cselect_b32 s20, s36, s60                                // 000000008C7C: 85143C24
	v_readlane_b32 s82, v3, 39                                 // 000000008C80: D2890052 00014F03
	s_and_b32 s82, s82, 0xffffff                               // 000000008C88: 8652FF52 00FFFFFF
	s_cmp_lt_u32 s82, s66                                      // 000000008C90: BF0A4252
	s_cselect_b32 s21, s36, s60                                // 000000008C94: 85153C24
	s_mov_b64 exec, s[20:21]                                   // 000000008C98: BEFE0114
	global_atomic_add_f32 v6, v131, s[8:9] offset:8            // 000000008C9C: DD348008 00088306
	s_mov_b64 exec, s[36:37]                                   // 000000008CA4: BEFE0124
	ds_write_b64 v20, v[132:133]                               // 000000008CA8: D89A0000 00008414
	ds_write_b64 v20, v[136:137] offset:2176                   // 000000008CB0: D89A0880 00008814
	ds_write_b64 v20, v[140:141] offset:4352                   // 000000008CB8: D89A1100 00008C14
	ds_write_b64 v20, v[144:145] offset:6528                   // 000000008CC0: D89A1980 00009014
	ds_write_b64 v20, v[148:149] offset:8704                   // 000000008CC8: D89A2200 00009414
	ds_write_b64 v20, v[152:153] offset:10880                  // 000000008CD0: D89A2A80 00009814
	ds_write_b64 v20, v[156:157] offset:13056                  // 000000008CD8: D89A3300 00009C14
	ds_write_b64 v20, v[160:161] offset:15232                  // 000000008CE0: D89A3B80 0000A014
	ds_write_b64 v20, v[164:165] offset:17408                  // 000000008CE8: D89A4400 0000A414
	ds_write_b64 v20, v[168:169] offset:19584                  // 000000008CF0: D89A4C80 0000A814
	s_waitcnt lgkmcnt(0)                                       // 000000008CF8: BF8CC07F
	s_barrier                                                  // 000000008CFC: BF8A0000
	ds_read_b32 v132, v21                                      // 000000008D00: D86C0000 84000015
	ds_read_b32 v133, v21 offset:64                            // 000000008D08: D86C0040 85000015
	ds_read_b32 v136, v21 offset:2176                          // 000000008D10: D86C0880 88000015
	ds_read_b32 v137, v21 offset:2240                          // 000000008D18: D86C08C0 89000015
	ds_read_b32 v140, v21 offset:4352                          // 000000008D20: D86C1100 8C000015
	ds_read_b32 v141, v21 offset:4416                          // 000000008D28: D86C1140 8D000015
	ds_read_b32 v144, v21 offset:6528                          // 000000008D30: D86C1980 90000015
	ds_read_b32 v145, v21 offset:6592                          // 000000008D38: D86C19C0 91000015
	ds_read_b32 v148, v21 offset:8704                          // 000000008D40: D86C2200 94000015
	ds_read_b32 v149, v21 offset:8768                          // 000000008D48: D86C2240 95000015
	ds_read_b32 v152, v21 offset:10880                         // 000000008D50: D86C2A80 98000015
	ds_read_b32 v153, v21 offset:10944                         // 000000008D58: D86C2AC0 99000015
	ds_read_b32 v156, v21 offset:13056                         // 000000008D60: D86C3300 9C000015
	ds_read_b32 v157, v21 offset:13120                         // 000000008D68: D86C3340 9D000015
	ds_read_b32 v160, v21 offset:15232                         // 000000008D70: D86C3B80 A0000015
	ds_read_b32 v161, v21 offset:15296                         // 000000008D78: D86C3BC0 A1000015
	ds_read_b32 v164, v21 offset:17408                         // 000000008D80: D86C4400 A4000015
	ds_read_b32 v165, v21 offset:17472                         // 000000008D88: D86C4440 A5000015
	ds_read_b32 v168, v21 offset:19584                         // 000000008D90: D86C4C80 A8000015
	ds_read_b32 v169, v21 offset:19648                         // 000000008D98: D86C4CC0 A9000015
	s_mul_i32 s60, s65, 4                                      // 000000008DA0: 923C8441
	s_add_u32 s8, s60, s8                                      // 000000008DA4: 8008083C
	s_addc_u32 s9, 0, s9                                       // 000000008DA8: 82090980
	s_waitcnt lgkmcnt(0)                                       // 000000008DAC: BF8CC07F
	v_mov_b32_e32 v7, 0                                        // 000000008DB0: 7E0E0280
	s_mov_b64 exec, s[36:37]                                   // 000000008DB4: BEFE0124
	v_mov_b32_e32 v6, v70                                      // 000000008DB8: 7E0C0346
	s_mov_b64 s[60:61], 0                                      // 000000008DBC: BEBC0180
	v_readlane_b32 s82, v3, 0                                  // 000000008DC0: D2890052 00010103
	s_and_b32 s82, s82, 0xffffff                               // 000000008DC8: 8652FF52 00FFFFFF
	s_cmp_lt_u32 s82, s66                                      // 000000008DD0: BF0A4252
	s_cselect_b32 s20, s36, s60                                // 000000008DD4: 85143C24
	v_readlane_b32 s82, v3, 1                                  // 000000008DD8: D2890052 00010303
	s_and_b32 s82, s82, 0xffffff                               // 000000008DE0: 8652FF52 00FFFFFF
	s_cmp_lt_u32 s82, s66                                      // 000000008DE8: BF0A4252
	s_cselect_b32 s21, s36, s60                                // 000000008DEC: 85153C24
	s_mov_b64 exec, s[20:21]                                   // 000000008DF0: BEFE0114
	global_atomic_add_f32 v6, v132, s[8:9]                     // 000000008DF4: DD348000 00088406
	s_mov_b64 exec, s[36:37]                                   // 000000008DFC: BEFE0124
	v_mov_b32_e32 v6, v71                                      // 000000008E00: 7E0C0347
	s_mov_b64 s[60:61], 0                                      // 000000008E04: BEBC0180
	v_readlane_b32 s82, v3, 2                                  // 000000008E08: D2890052 00010503
	s_and_b32 s82, s82, 0xffffff                               // 000000008E10: 8652FF52 00FFFFFF
	s_cmp_lt_u32 s82, s66                                      // 000000008E18: BF0A4252
	s_cselect_b32 s20, s36, s60                                // 000000008E1C: 85143C24
	v_readlane_b32 s82, v3, 3                                  // 000000008E20: D2890052 00010703
	s_and_b32 s82, s82, 0xffffff                               // 000000008E28: 8652FF52 00FFFFFF
	s_cmp_lt_u32 s82, s66                                      // 000000008E30: BF0A4252
	s_cselect_b32 s21, s36, s60                                // 000000008E34: 85153C24
	s_mov_b64 exec, s[20:21]                                   // 000000008E38: BEFE0114
	global_atomic_add_f32 v6, v133, s[8:9]                     // 000000008E3C: DD348000 00088506
	s_mov_b64 exec, s[36:37]                                   // 000000008E44: BEFE0124
	v_mov_b32_e32 v6, v72                                      // 000000008E48: 7E0C0348
	s_mov_b64 s[60:61], 0                                      // 000000008E4C: BEBC0180
	v_readlane_b32 s82, v3, 4                                  // 000000008E50: D2890052 00010903
	s_and_b32 s82, s82, 0xffffff                               // 000000008E58: 8652FF52 00FFFFFF
	s_cmp_lt_u32 s82, s66                                      // 000000008E60: BF0A4252
	s_cselect_b32 s20, s36, s60                                // 000000008E64: 85143C24
	v_readlane_b32 s82, v3, 5                                  // 000000008E68: D2890052 00010B03
	s_and_b32 s82, s82, 0xffffff                               // 000000008E70: 8652FF52 00FFFFFF
	s_cmp_lt_u32 s82, s66                                      // 000000008E78: BF0A4252
	s_cselect_b32 s21, s36, s60                                // 000000008E7C: 85153C24
	s_mov_b64 exec, s[20:21]                                   // 000000008E80: BEFE0114
	global_atomic_add_f32 v6, v136, s[8:9]                     // 000000008E84: DD348000 00088806
	s_mov_b64 exec, s[36:37]                                   // 000000008E8C: BEFE0124
	v_mov_b32_e32 v6, v73                                      // 000000008E90: 7E0C0349
	s_mov_b64 s[60:61], 0                                      // 000000008E94: BEBC0180
	v_readlane_b32 s82, v3, 6                                  // 000000008E98: D2890052 00010D03
	s_and_b32 s82, s82, 0xffffff                               // 000000008EA0: 8652FF52 00FFFFFF
	s_cmp_lt_u32 s82, s66                                      // 000000008EA8: BF0A4252
	s_cselect_b32 s20, s36, s60                                // 000000008EAC: 85143C24
	v_readlane_b32 s82, v3, 7                                  // 000000008EB0: D2890052 00010F03
	s_and_b32 s82, s82, 0xffffff                               // 000000008EB8: 8652FF52 00FFFFFF
	s_cmp_lt_u32 s82, s66                                      // 000000008EC0: BF0A4252
	s_cselect_b32 s21, s36, s60                                // 000000008EC4: 85153C24
	s_mov_b64 exec, s[20:21]                                   // 000000008EC8: BEFE0114
	global_atomic_add_f32 v6, v137, s[8:9]                     // 000000008ECC: DD348000 00088906
	s_mov_b64 exec, s[36:37]                                   // 000000008ED4: BEFE0124
	v_mov_b32_e32 v6, v74                                      // 000000008ED8: 7E0C034A
	s_mov_b64 s[60:61], 0                                      // 000000008EDC: BEBC0180
	v_readlane_b32 s82, v3, 8                                  // 000000008EE0: D2890052 00011103
	s_and_b32 s82, s82, 0xffffff                               // 000000008EE8: 8652FF52 00FFFFFF
	s_cmp_lt_u32 s82, s66                                      // 000000008EF0: BF0A4252
	s_cselect_b32 s20, s36, s60                                // 000000008EF4: 85143C24
	v_readlane_b32 s82, v3, 9                                  // 000000008EF8: D2890052 00011303
	s_and_b32 s82, s82, 0xffffff                               // 000000008F00: 8652FF52 00FFFFFF
	s_cmp_lt_u32 s82, s66                                      // 000000008F08: BF0A4252
	s_cselect_b32 s21, s36, s60                                // 000000008F0C: 85153C24
	s_mov_b64 exec, s[20:21]                                   // 000000008F10: BEFE0114
	global_atomic_add_f32 v6, v140, s[8:9]                     // 000000008F14: DD348000 00088C06
	s_mov_b64 exec, s[36:37]                                   // 000000008F1C: BEFE0124
	v_mov_b32_e32 v6, v75                                      // 000000008F20: 7E0C034B
	s_mov_b64 s[60:61], 0                                      // 000000008F24: BEBC0180
	v_readlane_b32 s82, v3, 10                                 // 000000008F28: D2890052 00011503
	s_and_b32 s82, s82, 0xffffff                               // 000000008F30: 8652FF52 00FFFFFF
	s_cmp_lt_u32 s82, s66                                      // 000000008F38: BF0A4252
	s_cselect_b32 s20, s36, s60                                // 000000008F3C: 85143C24
	v_readlane_b32 s82, v3, 11                                 // 000000008F40: D2890052 00011703
	s_and_b32 s82, s82, 0xffffff                               // 000000008F48: 8652FF52 00FFFFFF
	s_cmp_lt_u32 s82, s66                                      // 000000008F50: BF0A4252
	s_cselect_b32 s21, s36, s60                                // 000000008F54: 85153C24
	s_mov_b64 exec, s[20:21]                                   // 000000008F58: BEFE0114
	global_atomic_add_f32 v6, v141, s[8:9]                     // 000000008F5C: DD348000 00088D06
	s_mov_b64 exec, s[36:37]                                   // 000000008F64: BEFE0124
	v_mov_b32_e32 v6, v76                                      // 000000008F68: 7E0C034C
	s_mov_b64 s[60:61], 0                                      // 000000008F6C: BEBC0180
	v_readlane_b32 s82, v3, 12                                 // 000000008F70: D2890052 00011903
	s_and_b32 s82, s82, 0xffffff                               // 000000008F78: 8652FF52 00FFFFFF
	s_cmp_lt_u32 s82, s66                                      // 000000008F80: BF0A4252
	s_cselect_b32 s20, s36, s60                                // 000000008F84: 85143C24
	v_readlane_b32 s82, v3, 13                                 // 000000008F88: D2890052 00011B03
	s_and_b32 s82, s82, 0xffffff                               // 000000008F90: 8652FF52 00FFFFFF
	s_cmp_lt_u32 s82, s66                                      // 000000008F98: BF0A4252
	s_cselect_b32 s21, s36, s60                                // 000000008F9C: 85153C24
	s_mov_b64 exec, s[20:21]                                   // 000000008FA0: BEFE0114
	global_atomic_add_f32 v6, v144, s[8:9]                     // 000000008FA4: DD348000 00089006
	s_mov_b64 exec, s[36:37]                                   // 000000008FAC: BEFE0124
	v_mov_b32_e32 v6, v77                                      // 000000008FB0: 7E0C034D
	s_mov_b64 s[60:61], 0                                      // 000000008FB4: BEBC0180
	v_readlane_b32 s82, v3, 14                                 // 000000008FB8: D2890052 00011D03
	s_and_b32 s82, s82, 0xffffff                               // 000000008FC0: 8652FF52 00FFFFFF
	s_cmp_lt_u32 s82, s66                                      // 000000008FC8: BF0A4252
	s_cselect_b32 s20, s36, s60                                // 000000008FCC: 85143C24
	v_readlane_b32 s82, v3, 15                                 // 000000008FD0: D2890052 00011F03
	s_and_b32 s82, s82, 0xffffff                               // 000000008FD8: 8652FF52 00FFFFFF
	s_cmp_lt_u32 s82, s66                                      // 000000008FE0: BF0A4252
	s_cselect_b32 s21, s36, s60                                // 000000008FE4: 85153C24
	s_mov_b64 exec, s[20:21]                                   // 000000008FE8: BEFE0114
	global_atomic_add_f32 v6, v145, s[8:9]                     // 000000008FEC: DD348000 00089106
	s_mov_b64 exec, s[36:37]                                   // 000000008FF4: BEFE0124
	v_mov_b32_e32 v6, v78                                      // 000000008FF8: 7E0C034E
	s_mov_b64 s[60:61], 0                                      // 000000008FFC: BEBC0180
	v_readlane_b32 s82, v3, 16                                 // 000000009000: D2890052 00012103
	s_and_b32 s82, s82, 0xffffff                               // 000000009008: 8652FF52 00FFFFFF
	s_cmp_lt_u32 s82, s66                                      // 000000009010: BF0A4252
	s_cselect_b32 s20, s36, s60                                // 000000009014: 85143C24
	v_readlane_b32 s82, v3, 17                                 // 000000009018: D2890052 00012303
	s_and_b32 s82, s82, 0xffffff                               // 000000009020: 8652FF52 00FFFFFF
	s_cmp_lt_u32 s82, s66                                      // 000000009028: BF0A4252
	s_cselect_b32 s21, s36, s60                                // 00000000902C: 85153C24
	s_mov_b64 exec, s[20:21]                                   // 000000009030: BEFE0114
	global_atomic_add_f32 v6, v148, s[8:9]                     // 000000009034: DD348000 00089406
	s_mov_b64 exec, s[36:37]                                   // 00000000903C: BEFE0124
	v_mov_b32_e32 v6, v79                                      // 000000009040: 7E0C034F
	s_mov_b64 s[60:61], 0                                      // 000000009044: BEBC0180
	v_readlane_b32 s82, v3, 18                                 // 000000009048: D2890052 00012503
	s_and_b32 s82, s82, 0xffffff                               // 000000009050: 8652FF52 00FFFFFF
	s_cmp_lt_u32 s82, s66                                      // 000000009058: BF0A4252
	s_cselect_b32 s20, s36, s60                                // 00000000905C: 85143C24
	v_readlane_b32 s82, v3, 19                                 // 000000009060: D2890052 00012703
	s_and_b32 s82, s82, 0xffffff                               // 000000009068: 8652FF52 00FFFFFF
	s_cmp_lt_u32 s82, s66                                      // 000000009070: BF0A4252
	s_cselect_b32 s21, s36, s60                                // 000000009074: 85153C24
	s_mov_b64 exec, s[20:21]                                   // 000000009078: BEFE0114
	global_atomic_add_f32 v6, v149, s[8:9]                     // 00000000907C: DD348000 00089506
	s_mov_b64 exec, s[36:37]                                   // 000000009084: BEFE0124
	v_mov_b32_e32 v6, v80                                      // 000000009088: 7E0C0350
	s_mov_b64 s[60:61], 0                                      // 00000000908C: BEBC0180
	v_readlane_b32 s82, v3, 20                                 // 000000009090: D2890052 00012903
	s_and_b32 s82, s82, 0xffffff                               // 000000009098: 8652FF52 00FFFFFF
	s_cmp_lt_u32 s82, s66                                      // 0000000090A0: BF0A4252
	s_cselect_b32 s20, s36, s60                                // 0000000090A4: 85143C24
	v_readlane_b32 s82, v3, 21                                 // 0000000090A8: D2890052 00012B03
	s_and_b32 s82, s82, 0xffffff                               // 0000000090B0: 8652FF52 00FFFFFF
	s_cmp_lt_u32 s82, s66                                      // 0000000090B8: BF0A4252
	s_cselect_b32 s21, s36, s60                                // 0000000090BC: 85153C24
	s_mov_b64 exec, s[20:21]                                   // 0000000090C0: BEFE0114
	global_atomic_add_f32 v6, v152, s[8:9]                     // 0000000090C4: DD348000 00089806
	s_mov_b64 exec, s[36:37]                                   // 0000000090CC: BEFE0124
	v_mov_b32_e32 v6, v81                                      // 0000000090D0: 7E0C0351
	s_mov_b64 s[60:61], 0                                      // 0000000090D4: BEBC0180
	v_readlane_b32 s82, v3, 22                                 // 0000000090D8: D2890052 00012D03
	s_and_b32 s82, s82, 0xffffff                               // 0000000090E0: 8652FF52 00FFFFFF
	s_cmp_lt_u32 s82, s66                                      // 0000000090E8: BF0A4252
	s_cselect_b32 s20, s36, s60                                // 0000000090EC: 85143C24
	v_readlane_b32 s82, v3, 23                                 // 0000000090F0: D2890052 00012F03
	s_and_b32 s82, s82, 0xffffff                               // 0000000090F8: 8652FF52 00FFFFFF
	s_cmp_lt_u32 s82, s66                                      // 000000009100: BF0A4252
	s_cselect_b32 s21, s36, s60                                // 000000009104: 85153C24
	s_mov_b64 exec, s[20:21]                                   // 000000009108: BEFE0114
	global_atomic_add_f32 v6, v153, s[8:9]                     // 00000000910C: DD348000 00089906
	s_mov_b64 exec, s[36:37]                                   // 000000009114: BEFE0124
	v_mov_b32_e32 v6, v82                                      // 000000009118: 7E0C0352
	s_mov_b64 s[60:61], 0                                      // 00000000911C: BEBC0180
	v_readlane_b32 s82, v3, 24                                 // 000000009120: D2890052 00013103
	s_and_b32 s82, s82, 0xffffff                               // 000000009128: 8652FF52 00FFFFFF
	s_cmp_lt_u32 s82, s66                                      // 000000009130: BF0A4252
	s_cselect_b32 s20, s36, s60                                // 000000009134: 85143C24
	v_readlane_b32 s82, v3, 25                                 // 000000009138: D2890052 00013303
	s_and_b32 s82, s82, 0xffffff                               // 000000009140: 8652FF52 00FFFFFF
	s_cmp_lt_u32 s82, s66                                      // 000000009148: BF0A4252
	s_cselect_b32 s21, s36, s60                                // 00000000914C: 85153C24
	s_mov_b64 exec, s[20:21]                                   // 000000009150: BEFE0114
	global_atomic_add_f32 v6, v156, s[8:9]                     // 000000009154: DD348000 00089C06
	s_mov_b64 exec, s[36:37]                                   // 00000000915C: BEFE0124
	v_mov_b32_e32 v6, v83                                      // 000000009160: 7E0C0353
	s_mov_b64 s[60:61], 0                                      // 000000009164: BEBC0180
	v_readlane_b32 s82, v3, 26                                 // 000000009168: D2890052 00013503
	s_and_b32 s82, s82, 0xffffff                               // 000000009170: 8652FF52 00FFFFFF
	s_cmp_lt_u32 s82, s66                                      // 000000009178: BF0A4252
	s_cselect_b32 s20, s36, s60                                // 00000000917C: 85143C24
	v_readlane_b32 s82, v3, 27                                 // 000000009180: D2890052 00013703
	s_and_b32 s82, s82, 0xffffff                               // 000000009188: 8652FF52 00FFFFFF
	s_cmp_lt_u32 s82, s66                                      // 000000009190: BF0A4252
	s_cselect_b32 s21, s36, s60                                // 000000009194: 85153C24
	s_mov_b64 exec, s[20:21]                                   // 000000009198: BEFE0114
	global_atomic_add_f32 v6, v157, s[8:9]                     // 00000000919C: DD348000 00089D06
	s_mov_b64 exec, s[36:37]                                   // 0000000091A4: BEFE0124
	v_mov_b32_e32 v6, v84                                      // 0000000091A8: 7E0C0354
	s_mov_b64 s[60:61], 0                                      // 0000000091AC: BEBC0180
	v_readlane_b32 s82, v3, 28                                 // 0000000091B0: D2890052 00013903
	s_and_b32 s82, s82, 0xffffff                               // 0000000091B8: 8652FF52 00FFFFFF
	s_cmp_lt_u32 s82, s66                                      // 0000000091C0: BF0A4252
	s_cselect_b32 s20, s36, s60                                // 0000000091C4: 85143C24
	v_readlane_b32 s82, v3, 29                                 // 0000000091C8: D2890052 00013B03
	s_and_b32 s82, s82, 0xffffff                               // 0000000091D0: 8652FF52 00FFFFFF
	s_cmp_lt_u32 s82, s66                                      // 0000000091D8: BF0A4252
	s_cselect_b32 s21, s36, s60                                // 0000000091DC: 85153C24
	s_mov_b64 exec, s[20:21]                                   // 0000000091E0: BEFE0114
	global_atomic_add_f32 v6, v160, s[8:9]                     // 0000000091E4: DD348000 0008A006
	s_mov_b64 exec, s[36:37]                                   // 0000000091EC: BEFE0124
	v_mov_b32_e32 v6, v85                                      // 0000000091F0: 7E0C0355
	s_mov_b64 s[60:61], 0                                      // 0000000091F4: BEBC0180
	v_readlane_b32 s82, v3, 30                                 // 0000000091F8: D2890052 00013D03
	s_and_b32 s82, s82, 0xffffff                               // 000000009200: 8652FF52 00FFFFFF
	s_cmp_lt_u32 s82, s66                                      // 000000009208: BF0A4252
	s_cselect_b32 s20, s36, s60                                // 00000000920C: 85143C24
	v_readlane_b32 s82, v3, 31                                 // 000000009210: D2890052 00013F03
	s_and_b32 s82, s82, 0xffffff                               // 000000009218: 8652FF52 00FFFFFF
	s_cmp_lt_u32 s82, s66                                      // 000000009220: BF0A4252
	s_cselect_b32 s21, s36, s60                                // 000000009224: 85153C24
	s_mov_b64 exec, s[20:21]                                   // 000000009228: BEFE0114
	global_atomic_add_f32 v6, v161, s[8:9]                     // 00000000922C: DD348000 0008A106
	s_mov_b64 exec, s[36:37]                                   // 000000009234: BEFE0124
	v_mov_b32_e32 v6, v86                                      // 000000009238: 7E0C0356
	s_mov_b64 s[60:61], 0                                      // 00000000923C: BEBC0180
	v_readlane_b32 s82, v3, 32                                 // 000000009240: D2890052 00014103
	s_and_b32 s82, s82, 0xffffff                               // 000000009248: 8652FF52 00FFFFFF
	s_cmp_lt_u32 s82, s66                                      // 000000009250: BF0A4252
	s_cselect_b32 s20, s36, s60                                // 000000009254: 85143C24
	v_readlane_b32 s82, v3, 33                                 // 000000009258: D2890052 00014303
	s_and_b32 s82, s82, 0xffffff                               // 000000009260: 8652FF52 00FFFFFF
	s_cmp_lt_u32 s82, s66                                      // 000000009268: BF0A4252
	s_cselect_b32 s21, s36, s60                                // 00000000926C: 85153C24
	s_mov_b64 exec, s[20:21]                                   // 000000009270: BEFE0114
	global_atomic_add_f32 v6, v164, s[8:9]                     // 000000009274: DD348000 0008A406
	s_mov_b64 exec, s[36:37]                                   // 00000000927C: BEFE0124
	v_mov_b32_e32 v6, v87                                      // 000000009280: 7E0C0357
	s_mov_b64 s[60:61], 0                                      // 000000009284: BEBC0180
	v_readlane_b32 s82, v3, 34                                 // 000000009288: D2890052 00014503
	s_and_b32 s82, s82, 0xffffff                               // 000000009290: 8652FF52 00FFFFFF
	s_cmp_lt_u32 s82, s66                                      // 000000009298: BF0A4252
	s_cselect_b32 s20, s36, s60                                // 00000000929C: 85143C24
	v_readlane_b32 s82, v3, 35                                 // 0000000092A0: D2890052 00014703
	s_and_b32 s82, s82, 0xffffff                               // 0000000092A8: 8652FF52 00FFFFFF
	s_cmp_lt_u32 s82, s66                                      // 0000000092B0: BF0A4252
	s_cselect_b32 s21, s36, s60                                // 0000000092B4: 85153C24
	s_mov_b64 exec, s[20:21]                                   // 0000000092B8: BEFE0114
	global_atomic_add_f32 v6, v165, s[8:9]                     // 0000000092BC: DD348000 0008A506
	s_mov_b64 exec, s[36:37]                                   // 0000000092C4: BEFE0124
	v_mov_b32_e32 v6, v88                                      // 0000000092C8: 7E0C0358
	s_mov_b64 s[60:61], 0                                      // 0000000092CC: BEBC0180
	v_readlane_b32 s82, v3, 36                                 // 0000000092D0: D2890052 00014903
	s_and_b32 s82, s82, 0xffffff                               // 0000000092D8: 8652FF52 00FFFFFF
	s_cmp_lt_u32 s82, s66                                      // 0000000092E0: BF0A4252
	s_cselect_b32 s20, s36, s60                                // 0000000092E4: 85143C24
	v_readlane_b32 s82, v3, 37                                 // 0000000092E8: D2890052 00014B03
	s_and_b32 s82, s82, 0xffffff                               // 0000000092F0: 8652FF52 00FFFFFF
	s_cmp_lt_u32 s82, s66                                      // 0000000092F8: BF0A4252
	s_cselect_b32 s21, s36, s60                                // 0000000092FC: 85153C24
	s_mov_b64 exec, s[20:21]                                   // 000000009300: BEFE0114
	global_atomic_add_f32 v6, v168, s[8:9]                     // 000000009304: DD348000 0008A806
	s_mov_b64 exec, s[36:37]                                   // 00000000930C: BEFE0124
	v_mov_b32_e32 v6, v89                                      // 000000009310: 7E0C0359
	s_mov_b64 s[60:61], 0                                      // 000000009314: BEBC0180
	v_readlane_b32 s82, v3, 38                                 // 000000009318: D2890052 00014D03
	s_and_b32 s82, s82, 0xffffff                               // 000000009320: 8652FF52 00FFFFFF
	s_cmp_lt_u32 s82, s66                                      // 000000009328: BF0A4252
	s_cselect_b32 s20, s36, s60                                // 00000000932C: 85143C24
	v_readlane_b32 s82, v3, 39                                 // 000000009330: D2890052 00014F03
	s_and_b32 s82, s82, 0xffffff                               // 000000009338: 8652FF52 00FFFFFF
	s_cmp_lt_u32 s82, s66                                      // 000000009340: BF0A4252
	s_cselect_b32 s21, s36, s60                                // 000000009344: 85153C24
	s_mov_b64 exec, s[20:21]                                   // 000000009348: BEFE0114
	global_atomic_add_f32 v6, v169, s[8:9]                     // 00000000934C: DD348000 0008A906
	s_mov_b64 exec, s[36:37]                                   // 000000009354: BEFE0124
	ds_write_b64 v20, v[134:135]                               // 000000009358: D89A0000 00008614
	ds_write_b64 v20, v[138:139] offset:2176                   // 000000009360: D89A0880 00008A14
	ds_write_b64 v20, v[142:143] offset:4352                   // 000000009368: D89A1100 00008E14
	ds_write_b64 v20, v[146:147] offset:6528                   // 000000009370: D89A1980 00009214
	ds_write_b64 v20, v[150:151] offset:8704                   // 000000009378: D89A2200 00009614
	ds_write_b64 v20, v[154:155] offset:10880                  // 000000009380: D89A2A80 00009A14
	ds_write_b64 v20, v[158:159] offset:13056                  // 000000009388: D89A3300 00009E14
	ds_write_b64 v20, v[162:163] offset:15232                  // 000000009390: D89A3B80 0000A214
	ds_write_b64 v20, v[166:167] offset:17408                  // 000000009398: D89A4400 0000A614
	ds_write_b64 v20, v[170:171] offset:19584                  // 0000000093A0: D89A4C80 0000AA14
	s_waitcnt lgkmcnt(0)                                       // 0000000093A8: BF8CC07F
	s_barrier                                                  // 0000000093AC: BF8A0000
	ds_read_b32 v134, v21                                      // 0000000093B0: D86C0000 86000015
	ds_read_b32 v135, v21 offset:64                            // 0000000093B8: D86C0040 87000015
	ds_read_b32 v138, v21 offset:2176                          // 0000000093C0: D86C0880 8A000015
	ds_read_b32 v139, v21 offset:2240                          // 0000000093C8: D86C08C0 8B000015
	ds_read_b32 v142, v21 offset:4352                          // 0000000093D0: D86C1100 8E000015
	ds_read_b32 v143, v21 offset:4416                          // 0000000093D8: D86C1140 8F000015
	ds_read_b32 v146, v21 offset:6528                          // 0000000093E0: D86C1980 92000015
	ds_read_b32 v147, v21 offset:6592                          // 0000000093E8: D86C19C0 93000015
	ds_read_b32 v150, v21 offset:8704                          // 0000000093F0: D86C2200 96000015
	ds_read_b32 v151, v21 offset:8768                          // 0000000093F8: D86C2240 97000015
	ds_read_b32 v154, v21 offset:10880                         // 000000009400: D86C2A80 9A000015
	ds_read_b32 v155, v21 offset:10944                         // 000000009408: D86C2AC0 9B000015
	ds_read_b32 v158, v21 offset:13056                         // 000000009410: D86C3300 9E000015
	ds_read_b32 v159, v21 offset:13120                         // 000000009418: D86C3340 9F000015
	ds_read_b32 v162, v21 offset:15232                         // 000000009420: D86C3B80 A2000015
	ds_read_b32 v163, v21 offset:15296                         // 000000009428: D86C3BC0 A3000015
	ds_read_b32 v166, v21 offset:17408                         // 000000009430: D86C4400 A6000015
	ds_read_b32 v167, v21 offset:17472                         // 000000009438: D86C4440 A7000015
	ds_read_b32 v170, v21 offset:19584                         // 000000009440: D86C4C80 AA000015
	ds_read_b32 v171, v21 offset:19648                         // 000000009448: D86C4CC0 AB000015
	s_waitcnt lgkmcnt(0)                                       // 000000009450: BF8CC07F
	v_mov_b32_e32 v7, 0                                        // 000000009454: 7E0E0280
	s_mov_b64 exec, s[36:37]                                   // 000000009458: BEFE0124
	v_mov_b32_e32 v6, v70                                      // 00000000945C: 7E0C0346
	s_mov_b64 s[60:61], 0                                      // 000000009460: BEBC0180
	v_readlane_b32 s82, v3, 0                                  // 000000009464: D2890052 00010103
	s_and_b32 s82, s82, 0xffffff                               // 00000000946C: 8652FF52 00FFFFFF
	s_cmp_lt_u32 s82, s66                                      // 000000009474: BF0A4252
	s_cselect_b32 s20, s36, s60                                // 000000009478: 85143C24
	v_readlane_b32 s82, v3, 1                                  // 00000000947C: D2890052 00010303
	s_and_b32 s82, s82, 0xffffff                               // 000000009484: 8652FF52 00FFFFFF
	s_cmp_lt_u32 s82, s66                                      // 00000000948C: BF0A4252
	s_cselect_b32 s21, s36, s60                                // 000000009490: 85153C24
	s_mov_b64 exec, s[20:21]                                   // 000000009494: BEFE0114
	global_atomic_add_f32 v6, v134, s[8:9] offset:8            // 000000009498: DD348008 00088606
	s_mov_b64 exec, s[36:37]                                   // 0000000094A0: BEFE0124
	v_mov_b32_e32 v6, v71                                      // 0000000094A4: 7E0C0347
	s_mov_b64 s[60:61], 0                                      // 0000000094A8: BEBC0180
	v_readlane_b32 s82, v3, 2                                  // 0000000094AC: D2890052 00010503
	s_and_b32 s82, s82, 0xffffff                               // 0000000094B4: 8652FF52 00FFFFFF
	s_cmp_lt_u32 s82, s66                                      // 0000000094BC: BF0A4252
	s_cselect_b32 s20, s36, s60                                // 0000000094C0: 85143C24
	v_readlane_b32 s82, v3, 3                                  // 0000000094C4: D2890052 00010703
	s_and_b32 s82, s82, 0xffffff                               // 0000000094CC: 8652FF52 00FFFFFF
	s_cmp_lt_u32 s82, s66                                      // 0000000094D4: BF0A4252
	s_cselect_b32 s21, s36, s60                                // 0000000094D8: 85153C24
	s_mov_b64 exec, s[20:21]                                   // 0000000094DC: BEFE0114
	global_atomic_add_f32 v6, v135, s[8:9] offset:8            // 0000000094E0: DD348008 00088706
	s_mov_b64 exec, s[36:37]                                   // 0000000094E8: BEFE0124
	v_mov_b32_e32 v6, v72                                      // 0000000094EC: 7E0C0348
	s_mov_b64 s[60:61], 0                                      // 0000000094F0: BEBC0180
	v_readlane_b32 s82, v3, 4                                  // 0000000094F4: D2890052 00010903
	s_and_b32 s82, s82, 0xffffff                               // 0000000094FC: 8652FF52 00FFFFFF
	s_cmp_lt_u32 s82, s66                                      // 000000009504: BF0A4252
	s_cselect_b32 s20, s36, s60                                // 000000009508: 85143C24
	v_readlane_b32 s82, v3, 5                                  // 00000000950C: D2890052 00010B03
	s_and_b32 s82, s82, 0xffffff                               // 000000009514: 8652FF52 00FFFFFF
	s_cmp_lt_u32 s82, s66                                      // 00000000951C: BF0A4252
	s_cselect_b32 s21, s36, s60                                // 000000009520: 85153C24
	s_mov_b64 exec, s[20:21]                                   // 000000009524: BEFE0114
	global_atomic_add_f32 v6, v138, s[8:9] offset:8            // 000000009528: DD348008 00088A06
	s_mov_b64 exec, s[36:37]                                   // 000000009530: BEFE0124
	v_mov_b32_e32 v6, v73                                      // 000000009534: 7E0C0349
	s_mov_b64 s[60:61], 0                                      // 000000009538: BEBC0180
	v_readlane_b32 s82, v3, 6                                  // 00000000953C: D2890052 00010D03
	s_and_b32 s82, s82, 0xffffff                               // 000000009544: 8652FF52 00FFFFFF
	s_cmp_lt_u32 s82, s66                                      // 00000000954C: BF0A4252
	s_cselect_b32 s20, s36, s60                                // 000000009550: 85143C24
	v_readlane_b32 s82, v3, 7                                  // 000000009554: D2890052 00010F03
	s_and_b32 s82, s82, 0xffffff                               // 00000000955C: 8652FF52 00FFFFFF
	s_cmp_lt_u32 s82, s66                                      // 000000009564: BF0A4252
	s_cselect_b32 s21, s36, s60                                // 000000009568: 85153C24
	s_mov_b64 exec, s[20:21]                                   // 00000000956C: BEFE0114
	global_atomic_add_f32 v6, v139, s[8:9] offset:8            // 000000009570: DD348008 00088B06
	s_mov_b64 exec, s[36:37]                                   // 000000009578: BEFE0124
	v_mov_b32_e32 v6, v74                                      // 00000000957C: 7E0C034A
	s_mov_b64 s[60:61], 0                                      // 000000009580: BEBC0180
	v_readlane_b32 s82, v3, 8                                  // 000000009584: D2890052 00011103
	s_and_b32 s82, s82, 0xffffff                               // 00000000958C: 8652FF52 00FFFFFF
	s_cmp_lt_u32 s82, s66                                      // 000000009594: BF0A4252
	s_cselect_b32 s20, s36, s60                                // 000000009598: 85143C24
	v_readlane_b32 s82, v3, 9                                  // 00000000959C: D2890052 00011303
	s_and_b32 s82, s82, 0xffffff                               // 0000000095A4: 8652FF52 00FFFFFF
	s_cmp_lt_u32 s82, s66                                      // 0000000095AC: BF0A4252
	s_cselect_b32 s21, s36, s60                                // 0000000095B0: 85153C24
	s_mov_b64 exec, s[20:21]                                   // 0000000095B4: BEFE0114
	global_atomic_add_f32 v6, v142, s[8:9] offset:8            // 0000000095B8: DD348008 00088E06
	s_mov_b64 exec, s[36:37]                                   // 0000000095C0: BEFE0124
	v_mov_b32_e32 v6, v75                                      // 0000000095C4: 7E0C034B
	s_mov_b64 s[60:61], 0                                      // 0000000095C8: BEBC0180
	v_readlane_b32 s82, v3, 10                                 // 0000000095CC: D2890052 00011503
	s_and_b32 s82, s82, 0xffffff                               // 0000000095D4: 8652FF52 00FFFFFF
	s_cmp_lt_u32 s82, s66                                      // 0000000095DC: BF0A4252
	s_cselect_b32 s20, s36, s60                                // 0000000095E0: 85143C24
	v_readlane_b32 s82, v3, 11                                 // 0000000095E4: D2890052 00011703
	s_and_b32 s82, s82, 0xffffff                               // 0000000095EC: 8652FF52 00FFFFFF
	s_cmp_lt_u32 s82, s66                                      // 0000000095F4: BF0A4252
	s_cselect_b32 s21, s36, s60                                // 0000000095F8: 85153C24
	s_mov_b64 exec, s[20:21]                                   // 0000000095FC: BEFE0114
	global_atomic_add_f32 v6, v143, s[8:9] offset:8            // 000000009600: DD348008 00088F06
	s_mov_b64 exec, s[36:37]                                   // 000000009608: BEFE0124
	v_mov_b32_e32 v6, v76                                      // 00000000960C: 7E0C034C
	s_mov_b64 s[60:61], 0                                      // 000000009610: BEBC0180
	v_readlane_b32 s82, v3, 12                                 // 000000009614: D2890052 00011903
	s_and_b32 s82, s82, 0xffffff                               // 00000000961C: 8652FF52 00FFFFFF
	s_cmp_lt_u32 s82, s66                                      // 000000009624: BF0A4252
	s_cselect_b32 s20, s36, s60                                // 000000009628: 85143C24
	v_readlane_b32 s82, v3, 13                                 // 00000000962C: D2890052 00011B03
	s_and_b32 s82, s82, 0xffffff                               // 000000009634: 8652FF52 00FFFFFF
	s_cmp_lt_u32 s82, s66                                      // 00000000963C: BF0A4252
	s_cselect_b32 s21, s36, s60                                // 000000009640: 85153C24
	s_mov_b64 exec, s[20:21]                                   // 000000009644: BEFE0114
	global_atomic_add_f32 v6, v146, s[8:9] offset:8            // 000000009648: DD348008 00089206
	s_mov_b64 exec, s[36:37]                                   // 000000009650: BEFE0124
	v_mov_b32_e32 v6, v77                                      // 000000009654: 7E0C034D
	s_mov_b64 s[60:61], 0                                      // 000000009658: BEBC0180
	v_readlane_b32 s82, v3, 14                                 // 00000000965C: D2890052 00011D03
	s_and_b32 s82, s82, 0xffffff                               // 000000009664: 8652FF52 00FFFFFF
	s_cmp_lt_u32 s82, s66                                      // 00000000966C: BF0A4252
	s_cselect_b32 s20, s36, s60                                // 000000009670: 85143C24
	v_readlane_b32 s82, v3, 15                                 // 000000009674: D2890052 00011F03
	s_and_b32 s82, s82, 0xffffff                               // 00000000967C: 8652FF52 00FFFFFF
	s_cmp_lt_u32 s82, s66                                      // 000000009684: BF0A4252
	s_cselect_b32 s21, s36, s60                                // 000000009688: 85153C24
	s_mov_b64 exec, s[20:21]                                   // 00000000968C: BEFE0114
	global_atomic_add_f32 v6, v147, s[8:9] offset:8            // 000000009690: DD348008 00089306
	s_mov_b64 exec, s[36:37]                                   // 000000009698: BEFE0124
	v_mov_b32_e32 v6, v78                                      // 00000000969C: 7E0C034E
	s_mov_b64 s[60:61], 0                                      // 0000000096A0: BEBC0180
	v_readlane_b32 s82, v3, 16                                 // 0000000096A4: D2890052 00012103
	s_and_b32 s82, s82, 0xffffff                               // 0000000096AC: 8652FF52 00FFFFFF
	s_cmp_lt_u32 s82, s66                                      // 0000000096B4: BF0A4252
	s_cselect_b32 s20, s36, s60                                // 0000000096B8: 85143C24
	v_readlane_b32 s82, v3, 17                                 // 0000000096BC: D2890052 00012303
	s_and_b32 s82, s82, 0xffffff                               // 0000000096C4: 8652FF52 00FFFFFF
	s_cmp_lt_u32 s82, s66                                      // 0000000096CC: BF0A4252
	s_cselect_b32 s21, s36, s60                                // 0000000096D0: 85153C24
	s_mov_b64 exec, s[20:21]                                   // 0000000096D4: BEFE0114
	global_atomic_add_f32 v6, v150, s[8:9] offset:8            // 0000000096D8: DD348008 00089606
	s_mov_b64 exec, s[36:37]                                   // 0000000096E0: BEFE0124
	v_mov_b32_e32 v6, v79                                      // 0000000096E4: 7E0C034F
	s_mov_b64 s[60:61], 0                                      // 0000000096E8: BEBC0180
	v_readlane_b32 s82, v3, 18                                 // 0000000096EC: D2890052 00012503
	s_and_b32 s82, s82, 0xffffff                               // 0000000096F4: 8652FF52 00FFFFFF
	s_cmp_lt_u32 s82, s66                                      // 0000000096FC: BF0A4252
	s_cselect_b32 s20, s36, s60                                // 000000009700: 85143C24
	v_readlane_b32 s82, v3, 19                                 // 000000009704: D2890052 00012703
	s_and_b32 s82, s82, 0xffffff                               // 00000000970C: 8652FF52 00FFFFFF
	s_cmp_lt_u32 s82, s66                                      // 000000009714: BF0A4252
	s_cselect_b32 s21, s36, s60                                // 000000009718: 85153C24
	s_mov_b64 exec, s[20:21]                                   // 00000000971C: BEFE0114
	global_atomic_add_f32 v6, v151, s[8:9] offset:8            // 000000009720: DD348008 00089706
	s_mov_b64 exec, s[36:37]                                   // 000000009728: BEFE0124
	v_mov_b32_e32 v6, v80                                      // 00000000972C: 7E0C0350
	s_mov_b64 s[60:61], 0                                      // 000000009730: BEBC0180
	v_readlane_b32 s82, v3, 20                                 // 000000009734: D2890052 00012903
	s_and_b32 s82, s82, 0xffffff                               // 00000000973C: 8652FF52 00FFFFFF
	s_cmp_lt_u32 s82, s66                                      // 000000009744: BF0A4252
	s_cselect_b32 s20, s36, s60                                // 000000009748: 85143C24
	v_readlane_b32 s82, v3, 21                                 // 00000000974C: D2890052 00012B03
	s_and_b32 s82, s82, 0xffffff                               // 000000009754: 8652FF52 00FFFFFF
	s_cmp_lt_u32 s82, s66                                      // 00000000975C: BF0A4252
	s_cselect_b32 s21, s36, s60                                // 000000009760: 85153C24
	s_mov_b64 exec, s[20:21]                                   // 000000009764: BEFE0114
	global_atomic_add_f32 v6, v154, s[8:9] offset:8            // 000000009768: DD348008 00089A06
	s_mov_b64 exec, s[36:37]                                   // 000000009770: BEFE0124
	v_mov_b32_e32 v6, v81                                      // 000000009774: 7E0C0351
	s_mov_b64 s[60:61], 0                                      // 000000009778: BEBC0180
	v_readlane_b32 s82, v3, 22                                 // 00000000977C: D2890052 00012D03
	s_and_b32 s82, s82, 0xffffff                               // 000000009784: 8652FF52 00FFFFFF
	s_cmp_lt_u32 s82, s66                                      // 00000000978C: BF0A4252
	s_cselect_b32 s20, s36, s60                                // 000000009790: 85143C24
	v_readlane_b32 s82, v3, 23                                 // 000000009794: D2890052 00012F03
	s_and_b32 s82, s82, 0xffffff                               // 00000000979C: 8652FF52 00FFFFFF
	s_cmp_lt_u32 s82, s66                                      // 0000000097A4: BF0A4252
	s_cselect_b32 s21, s36, s60                                // 0000000097A8: 85153C24
	s_mov_b64 exec, s[20:21]                                   // 0000000097AC: BEFE0114
	global_atomic_add_f32 v6, v155, s[8:9] offset:8            // 0000000097B0: DD348008 00089B06
	s_mov_b64 exec, s[36:37]                                   // 0000000097B8: BEFE0124
	v_mov_b32_e32 v6, v82                                      // 0000000097BC: 7E0C0352
	s_mov_b64 s[60:61], 0                                      // 0000000097C0: BEBC0180
	v_readlane_b32 s82, v3, 24                                 // 0000000097C4: D2890052 00013103
	s_and_b32 s82, s82, 0xffffff                               // 0000000097CC: 8652FF52 00FFFFFF
	s_cmp_lt_u32 s82, s66                                      // 0000000097D4: BF0A4252
	s_cselect_b32 s20, s36, s60                                // 0000000097D8: 85143C24
	v_readlane_b32 s82, v3, 25                                 // 0000000097DC: D2890052 00013303
	s_and_b32 s82, s82, 0xffffff                               // 0000000097E4: 8652FF52 00FFFFFF
	s_cmp_lt_u32 s82, s66                                      // 0000000097EC: BF0A4252
	s_cselect_b32 s21, s36, s60                                // 0000000097F0: 85153C24
	s_mov_b64 exec, s[20:21]                                   // 0000000097F4: BEFE0114
	global_atomic_add_f32 v6, v158, s[8:9] offset:8            // 0000000097F8: DD348008 00089E06
	s_mov_b64 exec, s[36:37]                                   // 000000009800: BEFE0124
	v_mov_b32_e32 v6, v83                                      // 000000009804: 7E0C0353
	s_mov_b64 s[60:61], 0                                      // 000000009808: BEBC0180
	v_readlane_b32 s82, v3, 26                                 // 00000000980C: D2890052 00013503
	s_and_b32 s82, s82, 0xffffff                               // 000000009814: 8652FF52 00FFFFFF
	s_cmp_lt_u32 s82, s66                                      // 00000000981C: BF0A4252
	s_cselect_b32 s20, s36, s60                                // 000000009820: 85143C24
	v_readlane_b32 s82, v3, 27                                 // 000000009824: D2890052 00013703
	s_and_b32 s82, s82, 0xffffff                               // 00000000982C: 8652FF52 00FFFFFF
	s_cmp_lt_u32 s82, s66                                      // 000000009834: BF0A4252
	s_cselect_b32 s21, s36, s60                                // 000000009838: 85153C24
	s_mov_b64 exec, s[20:21]                                   // 00000000983C: BEFE0114
	global_atomic_add_f32 v6, v159, s[8:9] offset:8            // 000000009840: DD348008 00089F06
	s_mov_b64 exec, s[36:37]                                   // 000000009848: BEFE0124
	v_mov_b32_e32 v6, v84                                      // 00000000984C: 7E0C0354
	s_mov_b64 s[60:61], 0                                      // 000000009850: BEBC0180
	v_readlane_b32 s82, v3, 28                                 // 000000009854: D2890052 00013903
	s_and_b32 s82, s82, 0xffffff                               // 00000000985C: 8652FF52 00FFFFFF
	s_cmp_lt_u32 s82, s66                                      // 000000009864: BF0A4252
	s_cselect_b32 s20, s36, s60                                // 000000009868: 85143C24
	v_readlane_b32 s82, v3, 29                                 // 00000000986C: D2890052 00013B03
	s_and_b32 s82, s82, 0xffffff                               // 000000009874: 8652FF52 00FFFFFF
	s_cmp_lt_u32 s82, s66                                      // 00000000987C: BF0A4252
	s_cselect_b32 s21, s36, s60                                // 000000009880: 85153C24
	s_mov_b64 exec, s[20:21]                                   // 000000009884: BEFE0114
	global_atomic_add_f32 v6, v162, s[8:9] offset:8            // 000000009888: DD348008 0008A206
	s_mov_b64 exec, s[36:37]                                   // 000000009890: BEFE0124
	v_mov_b32_e32 v6, v85                                      // 000000009894: 7E0C0355
	s_mov_b64 s[60:61], 0                                      // 000000009898: BEBC0180
	v_readlane_b32 s82, v3, 30                                 // 00000000989C: D2890052 00013D03
	s_and_b32 s82, s82, 0xffffff                               // 0000000098A4: 8652FF52 00FFFFFF
	s_cmp_lt_u32 s82, s66                                      // 0000000098AC: BF0A4252
	s_cselect_b32 s20, s36, s60                                // 0000000098B0: 85143C24
	v_readlane_b32 s82, v3, 31                                 // 0000000098B4: D2890052 00013F03
	s_and_b32 s82, s82, 0xffffff                               // 0000000098BC: 8652FF52 00FFFFFF
	s_cmp_lt_u32 s82, s66                                      // 0000000098C4: BF0A4252
	s_cselect_b32 s21, s36, s60                                // 0000000098C8: 85153C24
	s_mov_b64 exec, s[20:21]                                   // 0000000098CC: BEFE0114
	global_atomic_add_f32 v6, v163, s[8:9] offset:8            // 0000000098D0: DD348008 0008A306
	s_mov_b64 exec, s[36:37]                                   // 0000000098D8: BEFE0124
	v_mov_b32_e32 v6, v86                                      // 0000000098DC: 7E0C0356
	s_mov_b64 s[60:61], 0                                      // 0000000098E0: BEBC0180
	v_readlane_b32 s82, v3, 32                                 // 0000000098E4: D2890052 00014103
	s_and_b32 s82, s82, 0xffffff                               // 0000000098EC: 8652FF52 00FFFFFF
	s_cmp_lt_u32 s82, s66                                      // 0000000098F4: BF0A4252
	s_cselect_b32 s20, s36, s60                                // 0000000098F8: 85143C24
	v_readlane_b32 s82, v3, 33                                 // 0000000098FC: D2890052 00014303
	s_and_b32 s82, s82, 0xffffff                               // 000000009904: 8652FF52 00FFFFFF
	s_cmp_lt_u32 s82, s66                                      // 00000000990C: BF0A4252
	s_cselect_b32 s21, s36, s60                                // 000000009910: 85153C24
	s_mov_b64 exec, s[20:21]                                   // 000000009914: BEFE0114
	global_atomic_add_f32 v6, v166, s[8:9] offset:8            // 000000009918: DD348008 0008A606
	s_mov_b64 exec, s[36:37]                                   // 000000009920: BEFE0124
	v_mov_b32_e32 v6, v87                                      // 000000009924: 7E0C0357
	s_mov_b64 s[60:61], 0                                      // 000000009928: BEBC0180
	v_readlane_b32 s82, v3, 34                                 // 00000000992C: D2890052 00014503
	s_and_b32 s82, s82, 0xffffff                               // 000000009934: 8652FF52 00FFFFFF
	s_cmp_lt_u32 s82, s66                                      // 00000000993C: BF0A4252
	s_cselect_b32 s20, s36, s60                                // 000000009940: 85143C24
	v_readlane_b32 s82, v3, 35                                 // 000000009944: D2890052 00014703
	s_and_b32 s82, s82, 0xffffff                               // 00000000994C: 8652FF52 00FFFFFF
	s_cmp_lt_u32 s82, s66                                      // 000000009954: BF0A4252
	s_cselect_b32 s21, s36, s60                                // 000000009958: 85153C24
	s_mov_b64 exec, s[20:21]                                   // 00000000995C: BEFE0114
	global_atomic_add_f32 v6, v167, s[8:9] offset:8            // 000000009960: DD348008 0008A706
	s_mov_b64 exec, s[36:37]                                   // 000000009968: BEFE0124
	v_mov_b32_e32 v6, v88                                      // 00000000996C: 7E0C0358
	s_mov_b64 s[60:61], 0                                      // 000000009970: BEBC0180
	v_readlane_b32 s82, v3, 36                                 // 000000009974: D2890052 00014903
	s_and_b32 s82, s82, 0xffffff                               // 00000000997C: 8652FF52 00FFFFFF
	s_cmp_lt_u32 s82, s66                                      // 000000009984: BF0A4252
	s_cselect_b32 s20, s36, s60                                // 000000009988: 85143C24
	v_readlane_b32 s82, v3, 37                                 // 00000000998C: D2890052 00014B03
	s_and_b32 s82, s82, 0xffffff                               // 000000009994: 8652FF52 00FFFFFF
	s_cmp_lt_u32 s82, s66                                      // 00000000999C: BF0A4252
	s_cselect_b32 s21, s36, s60                                // 0000000099A0: 85153C24
	s_mov_b64 exec, s[20:21]                                   // 0000000099A4: BEFE0114
	global_atomic_add_f32 v6, v170, s[8:9] offset:8            // 0000000099A8: DD348008 0008AA06
	s_mov_b64 exec, s[36:37]                                   // 0000000099B0: BEFE0124
	v_mov_b32_e32 v6, v89                                      // 0000000099B4: 7E0C0359
	s_mov_b64 s[60:61], 0                                      // 0000000099B8: BEBC0180
	v_readlane_b32 s82, v3, 38                                 // 0000000099BC: D2890052 00014D03
	s_and_b32 s82, s82, 0xffffff                               // 0000000099C4: 8652FF52 00FFFFFF
	s_cmp_lt_u32 s82, s66                                      // 0000000099CC: BF0A4252
	s_cselect_b32 s20, s36, s60                                // 0000000099D0: 85143C24
	v_readlane_b32 s82, v3, 39                                 // 0000000099D4: D2890052 00014F03
	s_and_b32 s82, s82, 0xffffff                               // 0000000099DC: 8652FF52 00FFFFFF
	s_cmp_lt_u32 s82, s66                                      // 0000000099E4: BF0A4252
	s_cselect_b32 s21, s36, s60                                // 0000000099E8: 85153C24
	s_mov_b64 exec, s[20:21]                                   // 0000000099EC: BEFE0114
	global_atomic_add_f32 v6, v171, s[8:9] offset:8            // 0000000099F0: DD348008 0008AB06
	s_mov_b64 exec, s[36:37]                                   // 0000000099F8: BEFE0124
	s_branch label_342B                                        // 0000000099FC: BF821828

0000000000009a00 <label_1C03>:
	s_waitcnt vmcnt(22) lgkmcnt(0)                             // 000000009A00: BF8C4076
	v_mfma_f32_16x16x32_fp8_fp8 v[92:95], a[160:161], a[0:1], v[92:95]// 000000009A04: D3F3005C 1D7201A0
	buffer_load_dwordx4 a[176:179], v90, s[24:27], 0 offen     // 000000009A0C: E05C1000 8086B05A
	v_mfma_f32_16x16x32_fp8_fp8 v[92:95], a[162:163], a[2:3], v[92:95]// 000000009A14: D3F3005C 1D7205A2
	v_mfma_f32_16x16x32_fp8_fp8 v[92:95], a[164:165], a[4:5], v[92:95]// 000000009A1C: D3F3005C 1D7209A4
	v_mfma_f32_16x16x32_fp8_fp8 v[92:95], a[166:167], a[6:7], v[92:95]// 000000009A24: D3F3005C 1D720DA6
	v_mfma_f32_16x16x32_fp8_fp8 v[96:99], a[160:161], a[8:9], v[96:99]// 000000009A2C: D3F30060 1D8211A0
	buffer_load_dwordx4 a[180:183], v90, s[24:27], 0 offen offset:1024// 000000009A34: E05C1400 8086B45A
	buffer_load_dword v70, s[20:23], 0 offen lds               // 000000009A3C: E0511000 80050046
	s_add_u32 m0, 0x100, s50                                   // 000000009A44: 807C32FF 00000100
	v_mfma_f32_16x16x32_fp8_fp8 v[96:99], a[162:163], a[10:11], v[96:99]// 000000009A4C: D3F30060 1D8215A2
	v_mfma_f32_16x16x32_fp8_fp8 v[96:99], a[164:165], a[12:13], v[96:99]// 000000009A54: D3F30060 1D8219A4
	buffer_load_dword v71, s[20:23], 0 offen lds               // 000000009A5C: E0511000 80050047
	s_add_u32 m0, 0x200, s50                                   // 000000009A64: 807C32FF 00000200
	v_mfma_f32_16x16x32_fp8_fp8 v[96:99], a[166:167], a[14:15], v[96:99]// 000000009A6C: D3F30060 1D821DA6
	v_mfma_f32_16x16x32_fp8_fp8 v[100:103], a[160:161], a[16:17], v[100:103]// 000000009A74: D3F30064 1D9221A0
	buffer_load_dword v72, s[20:23], 0 offen lds               // 000000009A7C: E0511000 80050048
	s_add_u32 m0, 0x300, s50                                   // 000000009A84: 807C32FF 00000300
	v_mfma_f32_16x16x32_fp8_fp8 v[100:103], a[162:163], a[18:19], v[100:103]// 000000009A8C: D3F30064 1D9225A2
	v_mfma_f32_16x16x32_fp8_fp8 v[100:103], a[164:165], a[20:21], v[100:103]// 000000009A94: D3F30064 1D9229A4
	buffer_load_dword v73, s[20:23], 0 offen lds               // 000000009A9C: E0511000 80050049
	s_add_u32 m0, 0x400, s50                                   // 000000009AA4: 807C32FF 00000400
	v_mfma_f32_16x16x32_fp8_fp8 v[100:103], a[166:167], a[22:23], v[100:103]// 000000009AAC: D3F30064 1D922DA6
	v_mfma_f32_16x16x32_fp8_fp8 v[104:107], a[160:161], a[24:25], v[104:107]// 000000009AB4: D3F30068 1DA231A0
	buffer_load_dword v74, s[20:23], 0 offen lds               // 000000009ABC: E0511000 8005004A
	s_add_u32 m0, 0x500, s50                                   // 000000009AC4: 807C32FF 00000500
	v_mfma_f32_16x16x32_fp8_fp8 v[104:107], a[162:163], a[26:27], v[104:107]// 000000009ACC: D3F30068 1DA235A2
	v_mfma_f32_16x16x32_fp8_fp8 v[104:107], a[164:165], a[28:29], v[104:107]// 000000009AD4: D3F30068 1DA239A4
	buffer_load_dword v75, s[20:23], 0 offen lds               // 000000009ADC: E0511000 8005004B
	s_add_u32 m0, 0x600, s50                                   // 000000009AE4: 807C32FF 00000600
	v_mfma_f32_16x16x32_fp8_fp8 v[104:107], a[166:167], a[30:31], v[104:107]// 000000009AEC: D3F30068 1DA23DA6
	v_mfma_f32_16x16x32_fp8_fp8 v[108:111], a[160:161], a[32:33], v[108:111]// 000000009AF4: D3F3006C 1DB241A0
	buffer_load_dword v76, s[20:23], 0 offen lds               // 000000009AFC: E0511000 8005004C
	s_add_u32 m0, 0x700, s50                                   // 000000009B04: 807C32FF 00000700
	v_mfma_f32_16x16x32_fp8_fp8 v[108:111], a[162:163], a[34:35], v[108:111]// 000000009B0C: D3F3006C 1DB245A2
	v_mfma_f32_16x16x32_fp8_fp8 v[108:111], a[164:165], a[36:37], v[108:111]// 000000009B14: D3F3006C 1DB249A4
	buffer_load_dword v77, s[20:23], 0 offen lds               // 000000009B1C: E0511000 8005004D
	s_add_u32 m0, 0x800, s50                                   // 000000009B24: 807C32FF 00000800
	v_mfma_f32_16x16x32_fp8_fp8 v[108:111], a[166:167], a[38:39], v[108:111]// 000000009B2C: D3F3006C 1DB24DA6
	v_mfma_f32_16x16x32_fp8_fp8 v[112:115], a[160:161], a[40:41], v[112:115]// 000000009B34: D3F30070 1DC251A0
	buffer_load_dword v78, s[20:23], 0 offen lds               // 000000009B3C: E0511000 8005004E
	s_add_u32 m0, 0x900, s50                                   // 000000009B44: 807C32FF 00000900
	v_mfma_f32_16x16x32_fp8_fp8 v[112:115], a[162:163], a[42:43], v[112:115]// 000000009B4C: D3F30070 1DC255A2
	v_mfma_f32_16x16x32_fp8_fp8 v[112:115], a[164:165], a[44:45], v[112:115]// 000000009B54: D3F30070 1DC259A4
	buffer_load_dword v79, s[20:23], 0 offen lds               // 000000009B5C: E0511000 8005004F
	s_add_u32 m0, 0xa00, s50                                   // 000000009B64: 807C32FF 00000A00
	v_mfma_f32_16x16x32_fp8_fp8 v[112:115], a[166:167], a[46:47], v[112:115]// 000000009B6C: D3F30070 1DC25DA6
	v_mfma_f32_16x16x32_fp8_fp8 v[116:119], a[160:161], a[48:49], v[116:119]// 000000009B74: D3F30074 1DD261A0
	buffer_load_dword v80, s[20:23], 0 offen lds               // 000000009B7C: E0511000 80050050
	s_add_u32 m0, 0xb00, s50                                   // 000000009B84: 807C32FF 00000B00
	v_mfma_f32_16x16x32_fp8_fp8 v[116:119], a[162:163], a[50:51], v[116:119]// 000000009B8C: D3F30074 1DD265A2
	v_mfma_f32_16x16x32_fp8_fp8 v[116:119], a[164:165], a[52:53], v[116:119]// 000000009B94: D3F30074 1DD269A4
	buffer_load_dword v81, s[20:23], 0 offen lds               // 000000009B9C: E0511000 80050051
	s_add_u32 m0, 0xc00, s50                                   // 000000009BA4: 807C32FF 00000C00
	v_mfma_f32_16x16x32_fp8_fp8 v[116:119], a[166:167], a[54:55], v[116:119]// 000000009BAC: D3F30074 1DD26DA6
	v_mfma_f32_16x16x32_fp8_fp8 v[120:123], a[160:161], a[56:57], v[120:123]// 000000009BB4: D3F30078 1DE271A0
	buffer_load_dword v82, s[20:23], 0 offen lds               // 000000009BBC: E0511000 80050052
	s_add_u32 m0, 0xd00, s50                                   // 000000009BC4: 807C32FF 00000D00
	v_mfma_f32_16x16x32_fp8_fp8 v[120:123], a[162:163], a[58:59], v[120:123]// 000000009BCC: D3F30078 1DE275A2
	v_mfma_f32_16x16x32_fp8_fp8 v[120:123], a[164:165], a[60:61], v[120:123]// 000000009BD4: D3F30078 1DE279A4
	buffer_load_dword v83, s[20:23], 0 offen lds               // 000000009BDC: E0511000 80050053
	s_add_u32 m0, 0xe00, s50                                   // 000000009BE4: 807C32FF 00000E00
	v_mfma_f32_16x16x32_fp8_fp8 v[120:123], a[166:167], a[62:63], v[120:123]// 000000009BEC: D3F30078 1DE27DA6
	v_mfma_f32_16x16x32_fp8_fp8 v[124:127], a[160:161], a[64:65], v[124:127]// 000000009BF4: D3F3007C 1DF281A0
	buffer_load_dword v84, s[20:23], 0 offen lds               // 000000009BFC: E0511000 80050054
	s_add_u32 m0, 0xf00, s50                                   // 000000009C04: 807C32FF 00000F00
	v_mfma_f32_16x16x32_fp8_fp8 v[124:127], a[162:163], a[66:67], v[124:127]// 000000009C0C: D3F3007C 1DF285A2
	v_mfma_f32_16x16x32_fp8_fp8 v[124:127], a[164:165], a[68:69], v[124:127]// 000000009C14: D3F3007C 1DF289A4
	buffer_load_dword v85, s[20:23], 0 offen lds               // 000000009C1C: E0511000 80050055
	s_add_u32 m0, 0x1000, s50                                  // 000000009C24: 807C32FF 00001000
	v_mfma_f32_16x16x32_fp8_fp8 v[124:127], a[166:167], a[70:71], v[124:127]// 000000009C2C: D3F3007C 1DF28DA6
	v_mfma_f32_16x16x32_fp8_fp8 v[128:131], a[160:161], a[72:73], v[128:131]// 000000009C34: D3F30080 1E0291A0
	buffer_load_dword v86, s[20:23], 0 offen lds               // 000000009C3C: E0511000 80050056
	s_add_u32 m0, 0x1100, s50                                  // 000000009C44: 807C32FF 00001100
	v_mfma_f32_16x16x32_fp8_fp8 v[128:131], a[162:163], a[74:75], v[128:131]// 000000009C4C: D3F30080 1E0295A2
	v_mfma_f32_16x16x32_fp8_fp8 v[128:131], a[164:165], a[76:77], v[128:131]// 000000009C54: D3F30080 1E0299A4
	buffer_load_dword v87, s[20:23], 0 offen lds               // 000000009C5C: E0511000 80050057
	s_add_u32 m0, 0x1200, s50                                  // 000000009C64: 807C32FF 00001200
	v_mfma_f32_16x16x32_fp8_fp8 v[128:131], a[166:167], a[78:79], v[128:131]// 000000009C6C: D3F30080 1E029DA6
	buffer_load_dword v88, s[20:23], 0 offen lds               // 000000009C74: E0511000 80050058
	s_add_u32 m0, 0x1300, s50                                  // 000000009C7C: 807C32FF 00001300
	buffer_load_dword v89, s[20:23], 0 offen lds               // 000000009C84: E0511000 80050059
	s_add_u32 m0, 0, s48                                       // 000000009C8C: 807C3080
	s_waitcnt vmcnt(22)                                        // 000000009C90: BF8C4F76
	s_barrier                                                  // 000000009C94: BF8A0000
	v_mfma_f32_16x16x32_fp8_fp8 v[132:135], a[168:169], a[0:1], v[132:135]// 000000009C98: D3F30084 1E1201A8
	buffer_load_dwordx4 a[160:163], v90, s[84:87], 0 offen     // 000000009CA0: E05C1000 8095A05A
	v_mfma_f32_16x16x32_fp8_fp8 v[132:135], a[170:171], a[2:3], v[132:135]// 000000009CA8: D3F30084 1E1205AA
	v_mfma_f32_16x16x32_fp8_fp8 v[132:135], a[172:173], a[4:5], v[132:135]// 000000009CB0: D3F30084 1E1209AC
	ds_read_b128 a[80:83], v2 offset:20608                     // 000000009CB8: DBFE5080 50000002
	ds_read_b128 a[84:87], v2 offset:20672                     // 000000009CC0: DBFE50C0 54000002
	v_mfma_f32_16x16x32_fp8_fp8 v[132:135], a[174:175], a[6:7], v[132:135]// 000000009CC8: D3F30084 1E120DAE
	v_mfma_f32_16x16x32_fp8_fp8 v[136:139], a[168:169], a[8:9], v[136:139]// 000000009CD0: D3F30088 1E2211A8
	buffer_load_dwordx4 a[164:167], v90, s[84:87], 0 offen offset:1024// 000000009CD8: E05C1400 8095A45A
	v_mfma_f32_16x16x32_fp8_fp8 v[136:139], a[170:171], a[10:11], v[136:139]// 000000009CE0: D3F30088 1E2215AA
	v_mfma_f32_16x16x32_fp8_fp8 v[136:139], a[172:173], a[12:13], v[136:139]// 000000009CE8: D3F30088 1E2219AC
	ds_read_b128 a[88:91], v2 offset:21120                     // 000000009CF0: DBFE5280 58000002
	ds_read_b128 a[92:95], v2 offset:21184                     // 000000009CF8: DBFE52C0 5C000002
	v_mfma_f32_16x16x32_fp8_fp8 v[136:139], a[174:175], a[14:15], v[136:139]// 000000009D00: D3F30088 1E221DAE
	v_mfma_f32_16x16x32_fp8_fp8 v[140:143], a[168:169], a[16:17], v[140:143]// 000000009D08: D3F3008C 1E3221A8
	v_mfma_f32_16x16x32_fp8_fp8 v[140:143], a[170:171], a[18:19], v[140:143]// 000000009D10: D3F3008C 1E3225AA
	v_mfma_f32_16x16x32_fp8_fp8 v[140:143], a[172:173], a[20:21], v[140:143]// 000000009D18: D3F3008C 1E3229AC
	ds_read_b128 a[96:99], v2 offset:21632                     // 000000009D20: DBFE5480 60000002
	ds_read_b128 a[100:103], v2 offset:21696                   // 000000009D28: DBFE54C0 64000002
	v_mfma_f32_16x16x32_fp8_fp8 v[140:143], a[174:175], a[22:23], v[140:143]// 000000009D30: D3F3008C 1E322DAE
	v_mfma_f32_16x16x32_fp8_fp8 v[144:147], a[168:169], a[24:25], v[144:147]// 000000009D38: D3F30090 1E4231A8
	v_mfma_f32_16x16x32_fp8_fp8 v[144:147], a[170:171], a[26:27], v[144:147]// 000000009D40: D3F30090 1E4235AA
	v_mfma_f32_16x16x32_fp8_fp8 v[144:147], a[172:173], a[28:29], v[144:147]// 000000009D48: D3F30090 1E4239AC
	ds_read_b128 a[104:107], v2 offset:22144                   // 000000009D50: DBFE5680 68000002
	ds_read_b128 a[108:111], v2 offset:22208                   // 000000009D58: DBFE56C0 6C000002
	v_mfma_f32_16x16x32_fp8_fp8 v[144:147], a[174:175], a[30:31], v[144:147]// 000000009D60: D3F30090 1E423DAE
	v_mfma_f32_16x16x32_fp8_fp8 v[148:151], a[168:169], a[32:33], v[148:151]// 000000009D68: D3F30094 1E5241A8
	v_mfma_f32_16x16x32_fp8_fp8 v[148:151], a[170:171], a[34:35], v[148:151]// 000000009D70: D3F30094 1E5245AA
	v_mfma_f32_16x16x32_fp8_fp8 v[148:151], a[172:173], a[36:37], v[148:151]// 000000009D78: D3F30094 1E5249AC
	ds_read_b128 a[112:115], v2 offset:22656                   // 000000009D80: DBFE5880 70000002
	ds_read_b128 a[116:119], v2 offset:22720                   // 000000009D88: DBFE58C0 74000002
	v_mfma_f32_16x16x32_fp8_fp8 v[148:151], a[174:175], a[38:39], v[148:151]// 000000009D90: D3F30094 1E524DAE
	v_mfma_f32_16x16x32_fp8_fp8 v[152:155], a[168:169], a[40:41], v[152:155]// 000000009D98: D3F30098 1E6251A8
	v_mfma_f32_16x16x32_fp8_fp8 v[152:155], a[170:171], a[42:43], v[152:155]// 000000009DA0: D3F30098 1E6255AA
	v_mfma_f32_16x16x32_fp8_fp8 v[152:155], a[172:173], a[44:45], v[152:155]// 000000009DA8: D3F30098 1E6259AC
	ds_read_b128 a[120:123], v2 offset:23168                   // 000000009DB0: DBFE5A80 78000002
	ds_read_b128 a[124:127], v2 offset:23232                   // 000000009DB8: DBFE5AC0 7C000002
	v_mfma_f32_16x16x32_fp8_fp8 v[152:155], a[174:175], a[46:47], v[152:155]// 000000009DC0: D3F30098 1E625DAE
	v_mfma_f32_16x16x32_fp8_fp8 v[156:159], a[168:169], a[48:49], v[156:159]// 000000009DC8: D3F3009C 1E7261A8
	v_mfma_f32_16x16x32_fp8_fp8 v[156:159], a[170:171], a[50:51], v[156:159]// 000000009DD0: D3F3009C 1E7265AA
	v_mfma_f32_16x16x32_fp8_fp8 v[156:159], a[172:173], a[52:53], v[156:159]// 000000009DD8: D3F3009C 1E7269AC
	ds_read_b128 a[128:131], v2 offset:23680                   // 000000009DE0: DBFE5C80 80000002
	ds_read_b128 a[132:135], v2 offset:23744                   // 000000009DE8: DBFE5CC0 84000002
	v_mfma_f32_16x16x32_fp8_fp8 v[156:159], a[174:175], a[54:55], v[156:159]// 000000009DF0: D3F3009C 1E726DAE
	v_mfma_f32_16x16x32_fp8_fp8 v[160:163], a[168:169], a[56:57], v[160:163]// 000000009DF8: D3F300A0 1E8271A8
	v_mfma_f32_16x16x32_fp8_fp8 v[160:163], a[170:171], a[58:59], v[160:163]// 000000009E00: D3F300A0 1E8275AA
	v_mfma_f32_16x16x32_fp8_fp8 v[160:163], a[172:173], a[60:61], v[160:163]// 000000009E08: D3F300A0 1E8279AC
	ds_read_b128 a[136:139], v2 offset:24192                   // 000000009E10: DBFE5E80 88000002
	ds_read_b128 a[140:143], v2 offset:24256                   // 000000009E18: DBFE5EC0 8C000002
	v_mfma_f32_16x16x32_fp8_fp8 v[160:163], a[174:175], a[62:63], v[160:163]// 000000009E20: D3F300A0 1E827DAE
	v_mfma_f32_16x16x32_fp8_fp8 v[164:167], a[168:169], a[64:65], v[164:167]// 000000009E28: D3F300A4 1E9281A8
	s_add_u32 s60, 0x180, s80                                  // 000000009E30: 803C50FF 00000180
	s_cmp_lt_u32 s60, s81                                      // 000000009E38: BF0A513C
	s_cselect_b32 s57, s57, 0                                  // 000000009E3C: 85398039
	v_mfma_f32_16x16x32_fp8_fp8 v[164:167], a[170:171], a[66:67], v[164:167]// 000000009E40: D3F300A4 1E9285AA
	s_add_u32 s60, 0x100, s80                                  // 000000009E48: 803C50FF 00000100
	s_cmp_lt_u32 s60, s81                                      // 000000009E50: BF0A513C
	s_cselect_b32 s58, s58, 0                                  // 000000009E54: 853A803A
	v_mfma_f32_16x16x32_fp8_fp8 v[164:167], a[172:173], a[68:69], v[164:167]// 000000009E58: D3F300A4 1E9289AC
	ds_read_b128 a[144:147], v2 offset:24704                   // 000000009E60: DBFE6080 90000002
	ds_read_b128 a[148:151], v2 offset:24768                   // 000000009E68: DBFE60C0 94000002
	s_add_u32 s60, 0x100, s80                                  // 000000009E70: 803C50FF 00000100
	s_cmp_lt_u32 s60, s81                                      // 000000009E78: BF0A513C
	s_cselect_b32 s83, s83, 0                                  // 000000009E7C: 85538053
	v_mfma_f32_16x16x32_fp8_fp8 v[164:167], a[174:175], a[70:71], v[164:167]// 000000009E80: D3F300A4 1E928DAE
	s_add_u32 s24, s58, s24                                    // 000000009E88: 8018183A
	s_addc_u32 s25, 0, s25                                     // 000000009E8C: 82191980
	v_mfma_f32_16x16x32_fp8_fp8 v[168:171], a[168:169], a[72:73], v[168:171]// 000000009E90: D3F300A8 1EA291A8
	s_add_u32 s20, s57, s20                                    // 000000009E98: 80141439
	s_addc_u32 s21, 0, s21                                     // 000000009E9C: 82151580
	v_mfma_f32_16x16x32_fp8_fp8 v[168:171], a[170:171], a[74:75], v[168:171]// 000000009EA0: D3F300A8 1EA295AA
	s_add_u32 s84, s83, s84                                    // 000000009EA8: 80545453
	s_addc_u32 s85, 0, s85                                     // 000000009EAC: 82555580
	v_mfma_f32_16x16x32_fp8_fp8 v[168:171], a[172:173], a[76:77], v[168:171]// 000000009EB0: D3F300A8 1EA299AC
	ds_read_b128 a[152:155], v2 offset:25216                   // 000000009EB8: DBFE6280 98000002
	ds_read_b128 a[156:159], v2 offset:25280                   // 000000009EC0: DBFE62C0 9C000002
	v_mfma_f32_16x16x32_fp8_fp8 v[168:171], a[174:175], a[78:79], v[168:171]// 000000009EC8: D3F300A8 1EA29DAE
	s_addk_i32 s80, 0x80                                       // 000000009ED0: B7500080
	s_cmp_lt_i32 s80, s81                                      // 000000009ED4: BF045150
	s_cbranch_scc0 label_234E                                  // 000000009ED8: BF840614
	s_waitcnt vmcnt(22) lgkmcnt(0)                             // 000000009EDC: BF8C4076
	v_mfma_f32_16x16x32_fp8_fp8 v[92:95], a[176:177], a[80:81], v[92:95]// 000000009EE0: D3F3005C 1D72A1B0
	buffer_load_dwordx4 a[168:171], v90, s[24:27], 0 offen     // 000000009EE8: E05C1000 8086A85A
	v_mfma_f32_16x16x32_fp8_fp8 v[92:95], a[178:179], a[82:83], v[92:95]// 000000009EF0: D3F3005C 1D72A5B2
	v_mfma_f32_16x16x32_fp8_fp8 v[92:95], a[180:181], a[84:85], v[92:95]// 000000009EF8: D3F3005C 1D72A9B4
	v_mfma_f32_16x16x32_fp8_fp8 v[92:95], a[182:183], a[86:87], v[92:95]// 000000009F00: D3F3005C 1D72ADB6
	v_mfma_f32_16x16x32_fp8_fp8 v[96:99], a[176:177], a[88:89], v[96:99]// 000000009F08: D3F30060 1D82B1B0
	buffer_load_dwordx4 a[172:175], v90, s[24:27], 0 offen offset:1024// 000000009F10: E05C1400 8086AC5A
	buffer_load_dword v70, s[20:23], 0 offen lds               // 000000009F18: E0511000 80050046
	s_add_u32 m0, 0x100, s48                                   // 000000009F20: 807C30FF 00000100
	v_mfma_f32_16x16x32_fp8_fp8 v[96:99], a[178:179], a[90:91], v[96:99]// 000000009F28: D3F30060 1D82B5B2
	v_mfma_f32_16x16x32_fp8_fp8 v[96:99], a[180:181], a[92:93], v[96:99]// 000000009F30: D3F30060 1D82B9B4
	buffer_load_dword v71, s[20:23], 0 offen lds               // 000000009F38: E0511000 80050047
	s_add_u32 m0, 0x200, s48                                   // 000000009F40: 807C30FF 00000200
	v_mfma_f32_16x16x32_fp8_fp8 v[96:99], a[182:183], a[94:95], v[96:99]// 000000009F48: D3F30060 1D82BDB6
	v_mfma_f32_16x16x32_fp8_fp8 v[100:103], a[176:177], a[96:97], v[100:103]// 000000009F50: D3F30064 1D92C1B0
	buffer_load_dword v72, s[20:23], 0 offen lds               // 000000009F58: E0511000 80050048
	s_add_u32 m0, 0x300, s48                                   // 000000009F60: 807C30FF 00000300
	v_mfma_f32_16x16x32_fp8_fp8 v[100:103], a[178:179], a[98:99], v[100:103]// 000000009F68: D3F30064 1D92C5B2
	v_mfma_f32_16x16x32_fp8_fp8 v[100:103], a[180:181], a[100:101], v[100:103]// 000000009F70: D3F30064 1D92C9B4
	buffer_load_dword v73, s[20:23], 0 offen lds               // 000000009F78: E0511000 80050049
	s_add_u32 m0, 0x400, s48                                   // 000000009F80: 807C30FF 00000400
	v_mfma_f32_16x16x32_fp8_fp8 v[100:103], a[182:183], a[102:103], v[100:103]// 000000009F88: D3F30064 1D92CDB6
	v_mfma_f32_16x16x32_fp8_fp8 v[104:107], a[176:177], a[104:105], v[104:107]// 000000009F90: D3F30068 1DA2D1B0
	buffer_load_dword v74, s[20:23], 0 offen lds               // 000000009F98: E0511000 8005004A
	s_add_u32 m0, 0x500, s48                                   // 000000009FA0: 807C30FF 00000500
	v_mfma_f32_16x16x32_fp8_fp8 v[104:107], a[178:179], a[106:107], v[104:107]// 000000009FA8: D3F30068 1DA2D5B2
	v_mfma_f32_16x16x32_fp8_fp8 v[104:107], a[180:181], a[108:109], v[104:107]// 000000009FB0: D3F30068 1DA2D9B4
	buffer_load_dword v75, s[20:23], 0 offen lds               // 000000009FB8: E0511000 8005004B
	s_add_u32 m0, 0x600, s48                                   // 000000009FC0: 807C30FF 00000600
	v_mfma_f32_16x16x32_fp8_fp8 v[104:107], a[182:183], a[110:111], v[104:107]// 000000009FC8: D3F30068 1DA2DDB6
	v_mfma_f32_16x16x32_fp8_fp8 v[108:111], a[176:177], a[112:113], v[108:111]// 000000009FD0: D3F3006C 1DB2E1B0
	buffer_load_dword v76, s[20:23], 0 offen lds               // 000000009FD8: E0511000 8005004C
	s_add_u32 m0, 0x700, s48                                   // 000000009FE0: 807C30FF 00000700
	v_mfma_f32_16x16x32_fp8_fp8 v[108:111], a[178:179], a[114:115], v[108:111]// 000000009FE8: D3F3006C 1DB2E5B2
	v_mfma_f32_16x16x32_fp8_fp8 v[108:111], a[180:181], a[116:117], v[108:111]// 000000009FF0: D3F3006C 1DB2E9B4
	buffer_load_dword v77, s[20:23], 0 offen lds               // 000000009FF8: E0511000 8005004D
	s_add_u32 m0, 0x800, s48                                   // 00000000A000: 807C30FF 00000800
	v_mfma_f32_16x16x32_fp8_fp8 v[108:111], a[182:183], a[118:119], v[108:111]// 00000000A008: D3F3006C 1DB2EDB6
	v_mfma_f32_16x16x32_fp8_fp8 v[112:115], a[176:177], a[120:121], v[112:115]// 00000000A010: D3F30070 1DC2F1B0
	buffer_load_dword v78, s[20:23], 0 offen lds               // 00000000A018: E0511000 8005004E
	s_add_u32 m0, 0x900, s48                                   // 00000000A020: 807C30FF 00000900
	v_mfma_f32_16x16x32_fp8_fp8 v[112:115], a[178:179], a[122:123], v[112:115]// 00000000A028: D3F30070 1DC2F5B2
	v_mfma_f32_16x16x32_fp8_fp8 v[112:115], a[180:181], a[124:125], v[112:115]// 00000000A030: D3F30070 1DC2F9B4
	buffer_load_dword v79, s[20:23], 0 offen lds               // 00000000A038: E0511000 8005004F
	s_add_u32 m0, 0xa00, s48                                   // 00000000A040: 807C30FF 00000A00
	v_mfma_f32_16x16x32_fp8_fp8 v[112:115], a[182:183], a[126:127], v[112:115]// 00000000A048: D3F30070 1DC2FDB6
	v_mfma_f32_16x16x32_fp8_fp8 v[116:119], a[176:177], a[128:129], v[116:119]// 00000000A050: D3F30074 1DD301B0
	buffer_load_dword v80, s[20:23], 0 offen lds               // 00000000A058: E0511000 80050050
	s_add_u32 m0, 0xb00, s48                                   // 00000000A060: 807C30FF 00000B00
	v_mfma_f32_16x16x32_fp8_fp8 v[116:119], a[178:179], a[130:131], v[116:119]// 00000000A068: D3F30074 1DD305B2
	v_mfma_f32_16x16x32_fp8_fp8 v[116:119], a[180:181], a[132:133], v[116:119]// 00000000A070: D3F30074 1DD309B4
	buffer_load_dword v81, s[20:23], 0 offen lds               // 00000000A078: E0511000 80050051
	s_add_u32 m0, 0xc00, s48                                   // 00000000A080: 807C30FF 00000C00
	v_mfma_f32_16x16x32_fp8_fp8 v[116:119], a[182:183], a[134:135], v[116:119]// 00000000A088: D3F30074 1DD30DB6
	v_mfma_f32_16x16x32_fp8_fp8 v[120:123], a[176:177], a[136:137], v[120:123]// 00000000A090: D3F30078 1DE311B0
	buffer_load_dword v82, s[20:23], 0 offen lds               // 00000000A098: E0511000 80050052
	s_add_u32 m0, 0xd00, s48                                   // 00000000A0A0: 807C30FF 00000D00
	v_mfma_f32_16x16x32_fp8_fp8 v[120:123], a[178:179], a[138:139], v[120:123]// 00000000A0A8: D3F30078 1DE315B2
	v_mfma_f32_16x16x32_fp8_fp8 v[120:123], a[180:181], a[140:141], v[120:123]// 00000000A0B0: D3F30078 1DE319B4
	buffer_load_dword v83, s[20:23], 0 offen lds               // 00000000A0B8: E0511000 80050053
	s_add_u32 m0, 0xe00, s48                                   // 00000000A0C0: 807C30FF 00000E00
	v_mfma_f32_16x16x32_fp8_fp8 v[120:123], a[182:183], a[142:143], v[120:123]// 00000000A0C8: D3F30078 1DE31DB6
	v_mfma_f32_16x16x32_fp8_fp8 v[124:127], a[176:177], a[144:145], v[124:127]// 00000000A0D0: D3F3007C 1DF321B0
	buffer_load_dword v84, s[20:23], 0 offen lds               // 00000000A0D8: E0511000 80050054
	s_add_u32 m0, 0xf00, s48                                   // 00000000A0E0: 807C30FF 00000F00
	v_mfma_f32_16x16x32_fp8_fp8 v[124:127], a[178:179], a[146:147], v[124:127]// 00000000A0E8: D3F3007C 1DF325B2
	v_mfma_f32_16x16x32_fp8_fp8 v[124:127], a[180:181], a[148:149], v[124:127]// 00000000A0F0: D3F3007C 1DF329B4
	buffer_load_dword v85, s[20:23], 0 offen lds               // 00000000A0F8: E0511000 80050055
	s_add_u32 m0, 0x1000, s48                                  // 00000000A100: 807C30FF 00001000
	v_mfma_f32_16x16x32_fp8_fp8 v[124:127], a[182:183], a[150:151], v[124:127]// 00000000A108: D3F3007C 1DF32DB6
	v_mfma_f32_16x16x32_fp8_fp8 v[128:131], a[176:177], a[152:153], v[128:131]// 00000000A110: D3F30080 1E0331B0
	buffer_load_dword v86, s[20:23], 0 offen lds               // 00000000A118: E0511000 80050056
	s_add_u32 m0, 0x1100, s48                                  // 00000000A120: 807C30FF 00001100
	v_mfma_f32_16x16x32_fp8_fp8 v[128:131], a[178:179], a[154:155], v[128:131]// 00000000A128: D3F30080 1E0335B2
	v_mfma_f32_16x16x32_fp8_fp8 v[128:131], a[180:181], a[156:157], v[128:131]// 00000000A130: D3F30080 1E0339B4
	buffer_load_dword v87, s[20:23], 0 offen lds               // 00000000A138: E0511000 80050057
	s_add_u32 m0, 0x1200, s48                                  // 00000000A140: 807C30FF 00001200
	v_mfma_f32_16x16x32_fp8_fp8 v[128:131], a[182:183], a[158:159], v[128:131]// 00000000A148: D3F30080 1E033DB6
	buffer_load_dword v88, s[20:23], 0 offen lds               // 00000000A150: E0511000 80050058
	s_add_u32 m0, 0x1300, s48                                  // 00000000A158: 807C30FF 00001300
	buffer_load_dword v89, s[20:23], 0 offen lds               // 00000000A160: E0511000 80050059
	s_add_u32 m0, 0, s49                                       // 00000000A168: 807C3180
	s_waitcnt vmcnt(22)                                        // 00000000A16C: BF8C4F76
	s_barrier                                                  // 00000000A170: BF8A0000
	v_mfma_f32_16x16x32_fp8_fp8 v[132:135], a[160:161], a[80:81], v[132:135]// 00000000A174: D3F30084 1E12A1A0
	buffer_load_dwordx4 a[176:179], v90, s[84:87], 0 offen     // 00000000A17C: E05C1000 8095B05A
	v_mfma_f32_16x16x32_fp8_fp8 v[132:135], a[162:163], a[82:83], v[132:135]// 00000000A184: D3F30084 1E12A5A2
	v_mfma_f32_16x16x32_fp8_fp8 v[132:135], a[164:165], a[84:85], v[132:135]// 00000000A18C: D3F30084 1E12A9A4
	ds_read_b128 a[0:3], v2 offset:41216                       // 00000000A194: DBFEA100 00000002
	ds_read_b128 a[4:7], v2 offset:41280                       // 00000000A19C: DBFEA140 04000002
	v_mfma_f32_16x16x32_fp8_fp8 v[132:135], a[166:167], a[86:87], v[132:135]// 00000000A1A4: D3F30084 1E12ADA6
	v_mfma_f32_16x16x32_fp8_fp8 v[136:139], a[160:161], a[88:89], v[136:139]// 00000000A1AC: D3F30088 1E22B1A0
	buffer_load_dwordx4 a[180:183], v90, s[84:87], 0 offen offset:1024// 00000000A1B4: E05C1400 8095B45A
	v_mfma_f32_16x16x32_fp8_fp8 v[136:139], a[162:163], a[90:91], v[136:139]// 00000000A1BC: D3F30088 1E22B5A2
	v_mfma_f32_16x16x32_fp8_fp8 v[136:139], a[164:165], a[92:93], v[136:139]// 00000000A1C4: D3F30088 1E22B9A4
	ds_read_b128 a[8:11], v2 offset:41728                      // 00000000A1CC: DBFEA300 08000002
	ds_read_b128 a[12:15], v2 offset:41792                     // 00000000A1D4: DBFEA340 0C000002
	v_mfma_f32_16x16x32_fp8_fp8 v[136:139], a[166:167], a[94:95], v[136:139]// 00000000A1DC: D3F30088 1E22BDA6
	v_mfma_f32_16x16x32_fp8_fp8 v[140:143], a[160:161], a[96:97], v[140:143]// 00000000A1E4: D3F3008C 1E32C1A0
	v_mfma_f32_16x16x32_fp8_fp8 v[140:143], a[162:163], a[98:99], v[140:143]// 00000000A1EC: D3F3008C 1E32C5A2
	v_mfma_f32_16x16x32_fp8_fp8 v[140:143], a[164:165], a[100:101], v[140:143]// 00000000A1F4: D3F3008C 1E32C9A4
	ds_read_b128 a[16:19], v2 offset:42240                     // 00000000A1FC: DBFEA500 10000002
	ds_read_b128 a[20:23], v2 offset:42304                     // 00000000A204: DBFEA540 14000002
	v_mfma_f32_16x16x32_fp8_fp8 v[140:143], a[166:167], a[102:103], v[140:143]// 00000000A20C: D3F3008C 1E32CDA6
	v_mfma_f32_16x16x32_fp8_fp8 v[144:147], a[160:161], a[104:105], v[144:147]// 00000000A214: D3F30090 1E42D1A0
	v_mfma_f32_16x16x32_fp8_fp8 v[144:147], a[162:163], a[106:107], v[144:147]// 00000000A21C: D3F30090 1E42D5A2
	v_mfma_f32_16x16x32_fp8_fp8 v[144:147], a[164:165], a[108:109], v[144:147]// 00000000A224: D3F30090 1E42D9A4
	ds_read_b128 a[24:27], v2 offset:42752                     // 00000000A22C: DBFEA700 18000002
	ds_read_b128 a[28:31], v2 offset:42816                     // 00000000A234: DBFEA740 1C000002
	v_mfma_f32_16x16x32_fp8_fp8 v[144:147], a[166:167], a[110:111], v[144:147]// 00000000A23C: D3F30090 1E42DDA6
	v_mfma_f32_16x16x32_fp8_fp8 v[148:151], a[160:161], a[112:113], v[148:151]// 00000000A244: D3F30094 1E52E1A0
	v_mfma_f32_16x16x32_fp8_fp8 v[148:151], a[162:163], a[114:115], v[148:151]// 00000000A24C: D3F30094 1E52E5A2
	v_mfma_f32_16x16x32_fp8_fp8 v[148:151], a[164:165], a[116:117], v[148:151]// 00000000A254: D3F30094 1E52E9A4
	ds_read_b128 a[32:35], v2 offset:43264                     // 00000000A25C: DBFEA900 20000002
	ds_read_b128 a[36:39], v2 offset:43328                     // 00000000A264: DBFEA940 24000002
	v_mfma_f32_16x16x32_fp8_fp8 v[148:151], a[166:167], a[118:119], v[148:151]// 00000000A26C: D3F30094 1E52EDA6
	v_mfma_f32_16x16x32_fp8_fp8 v[152:155], a[160:161], a[120:121], v[152:155]// 00000000A274: D3F30098 1E62F1A0
	v_mfma_f32_16x16x32_fp8_fp8 v[152:155], a[162:163], a[122:123], v[152:155]// 00000000A27C: D3F30098 1E62F5A2
	v_mfma_f32_16x16x32_fp8_fp8 v[152:155], a[164:165], a[124:125], v[152:155]// 00000000A284: D3F30098 1E62F9A4
	ds_read_b128 a[40:43], v2 offset:43776                     // 00000000A28C: DBFEAB00 28000002
	ds_read_b128 a[44:47], v2 offset:43840                     // 00000000A294: DBFEAB40 2C000002
	v_mfma_f32_16x16x32_fp8_fp8 v[152:155], a[166:167], a[126:127], v[152:155]// 00000000A29C: D3F30098 1E62FDA6
	v_mfma_f32_16x16x32_fp8_fp8 v[156:159], a[160:161], a[128:129], v[156:159]// 00000000A2A4: D3F3009C 1E7301A0
	v_mfma_f32_16x16x32_fp8_fp8 v[156:159], a[162:163], a[130:131], v[156:159]// 00000000A2AC: D3F3009C 1E7305A2
	v_mfma_f32_16x16x32_fp8_fp8 v[156:159], a[164:165], a[132:133], v[156:159]// 00000000A2B4: D3F3009C 1E7309A4
	ds_read_b128 a[48:51], v2 offset:44288                     // 00000000A2BC: DBFEAD00 30000002
	ds_read_b128 a[52:55], v2 offset:44352                     // 00000000A2C4: DBFEAD40 34000002
	v_mfma_f32_16x16x32_fp8_fp8 v[156:159], a[166:167], a[134:135], v[156:159]// 00000000A2CC: D3F3009C 1E730DA6
	v_mfma_f32_16x16x32_fp8_fp8 v[160:163], a[160:161], a[136:137], v[160:163]// 00000000A2D4: D3F300A0 1E8311A0
	v_mfma_f32_16x16x32_fp8_fp8 v[160:163], a[162:163], a[138:139], v[160:163]// 00000000A2DC: D3F300A0 1E8315A2
	v_mfma_f32_16x16x32_fp8_fp8 v[160:163], a[164:165], a[140:141], v[160:163]// 00000000A2E4: D3F300A0 1E8319A4
	ds_read_b128 a[56:59], v2 offset:44800                     // 00000000A2EC: DBFEAF00 38000002
	ds_read_b128 a[60:63], v2 offset:44864                     // 00000000A2F4: DBFEAF40 3C000002
	v_mfma_f32_16x16x32_fp8_fp8 v[160:163], a[166:167], a[142:143], v[160:163]// 00000000A2FC: D3F300A0 1E831DA6
	v_mfma_f32_16x16x32_fp8_fp8 v[164:167], a[160:161], a[144:145], v[164:167]// 00000000A304: D3F300A4 1E9321A0
	s_add_u32 s60, 0x180, s80                                  // 00000000A30C: 803C50FF 00000180
	s_cmp_lt_u32 s60, s81                                      // 00000000A314: BF0A513C
	s_cselect_b32 s57, s57, 0                                  // 00000000A318: 85398039
	v_mfma_f32_16x16x32_fp8_fp8 v[164:167], a[162:163], a[146:147], v[164:167]// 00000000A31C: D3F300A4 1E9325A2
	s_add_u32 s60, 0x100, s80                                  // 00000000A324: 803C50FF 00000100
	s_cmp_lt_u32 s60, s81                                      // 00000000A32C: BF0A513C
	s_cselect_b32 s58, s58, 0                                  // 00000000A330: 853A803A
	v_mfma_f32_16x16x32_fp8_fp8 v[164:167], a[164:165], a[148:149], v[164:167]// 00000000A334: D3F300A4 1E9329A4
	ds_read_b128 a[64:67], v2 offset:45312                     // 00000000A33C: DBFEB100 40000002
	ds_read_b128 a[68:71], v2 offset:45376                     // 00000000A344: DBFEB140 44000002
	s_add_u32 s60, 0x100, s80                                  // 00000000A34C: 803C50FF 00000100
	s_cmp_lt_u32 s60, s81                                      // 00000000A354: BF0A513C
	s_cselect_b32 s83, s83, 0                                  // 00000000A358: 85538053
	v_mfma_f32_16x16x32_fp8_fp8 v[164:167], a[166:167], a[150:151], v[164:167]// 00000000A35C: D3F300A4 1E932DA6
	s_add_u32 s24, s58, s24                                    // 00000000A364: 8018183A
	s_addc_u32 s25, 0, s25                                     // 00000000A368: 82191980
	v_mfma_f32_16x16x32_fp8_fp8 v[168:171], a[160:161], a[152:153], v[168:171]// 00000000A36C: D3F300A8 1EA331A0
	s_add_u32 s20, s57, s20                                    // 00000000A374: 80141439
	s_addc_u32 s21, 0, s21                                     // 00000000A378: 82151580
	v_mfma_f32_16x16x32_fp8_fp8 v[168:171], a[162:163], a[154:155], v[168:171]// 00000000A37C: D3F300A8 1EA335A2
	s_add_u32 s84, s83, s84                                    // 00000000A384: 80545453
	s_addc_u32 s85, 0, s85                                     // 00000000A388: 82555580
	v_mfma_f32_16x16x32_fp8_fp8 v[168:171], a[164:165], a[156:157], v[168:171]// 00000000A38C: D3F300A8 1EA339A4
	ds_read_b128 a[72:75], v2 offset:45824                     // 00000000A394: DBFEB300 48000002
	ds_read_b128 a[76:79], v2 offset:45888                     // 00000000A39C: DBFEB340 4C000002
	v_mfma_f32_16x16x32_fp8_fp8 v[168:171], a[166:167], a[158:159], v[168:171]// 00000000A3A4: D3F300A8 1EA33DA6
	s_addk_i32 s80, 0x80                                       // 00000000A3AC: B7500080
	s_cmp_lt_i32 s80, s81                                      // 00000000A3B0: BF045150
	s_cbranch_scc0 label_234E                                  // 00000000A3B4: BF8404DD
	s_waitcnt vmcnt(22) lgkmcnt(0)                             // 00000000A3B8: BF8C4076
	v_mfma_f32_16x16x32_fp8_fp8 v[92:95], a[168:169], a[0:1], v[92:95]// 00000000A3BC: D3F3005C 1D7201A8
	buffer_load_dwordx4 a[160:163], v90, s[24:27], 0 offen     // 00000000A3C4: E05C1000 8086A05A
	v_mfma_f32_16x16x32_fp8_fp8 v[92:95], a[170:171], a[2:3], v[92:95]// 00000000A3CC: D3F3005C 1D7205AA
	v_mfma_f32_16x16x32_fp8_fp8 v[92:95], a[172:173], a[4:5], v[92:95]// 00000000A3D4: D3F3005C 1D7209AC
	v_mfma_f32_16x16x32_fp8_fp8 v[92:95], a[174:175], a[6:7], v[92:95]// 00000000A3DC: D3F3005C 1D720DAE
	v_mfma_f32_16x16x32_fp8_fp8 v[96:99], a[168:169], a[8:9], v[96:99]// 00000000A3E4: D3F30060 1D8211A8
	buffer_load_dwordx4 a[164:167], v90, s[24:27], 0 offen offset:1024// 00000000A3EC: E05C1400 8086A45A
	buffer_load_dword v70, s[20:23], 0 offen lds               // 00000000A3F4: E0511000 80050046
	s_add_u32 m0, 0x100, s49                                   // 00000000A3FC: 807C31FF 00000100
	v_mfma_f32_16x16x32_fp8_fp8 v[96:99], a[170:171], a[10:11], v[96:99]// 00000000A404: D3F30060 1D8215AA
	v_mfma_f32_16x16x32_fp8_fp8 v[96:99], a[172:173], a[12:13], v[96:99]// 00000000A40C: D3F30060 1D8219AC
	buffer_load_dword v71, s[20:23], 0 offen lds               // 00000000A414: E0511000 80050047
	s_add_u32 m0, 0x200, s49                                   // 00000000A41C: 807C31FF 00000200
	v_mfma_f32_16x16x32_fp8_fp8 v[96:99], a[174:175], a[14:15], v[96:99]// 00000000A424: D3F30060 1D821DAE
	v_mfma_f32_16x16x32_fp8_fp8 v[100:103], a[168:169], a[16:17], v[100:103]// 00000000A42C: D3F30064 1D9221A8
	buffer_load_dword v72, s[20:23], 0 offen lds               // 00000000A434: E0511000 80050048
	s_add_u32 m0, 0x300, s49                                   // 00000000A43C: 807C31FF 00000300
	v_mfma_f32_16x16x32_fp8_fp8 v[100:103], a[170:171], a[18:19], v[100:103]// 00000000A444: D3F30064 1D9225AA
	v_mfma_f32_16x16x32_fp8_fp8 v[100:103], a[172:173], a[20:21], v[100:103]// 00000000A44C: D3F30064 1D9229AC
	buffer_load_dword v73, s[20:23], 0 offen lds               // 00000000A454: E0511000 80050049
	s_add_u32 m0, 0x400, s49                                   // 00000000A45C: 807C31FF 00000400
	v_mfma_f32_16x16x32_fp8_fp8 v[100:103], a[174:175], a[22:23], v[100:103]// 00000000A464: D3F30064 1D922DAE
	v_mfma_f32_16x16x32_fp8_fp8 v[104:107], a[168:169], a[24:25], v[104:107]// 00000000A46C: D3F30068 1DA231A8
	buffer_load_dword v74, s[20:23], 0 offen lds               // 00000000A474: E0511000 8005004A
	s_add_u32 m0, 0x500, s49                                   // 00000000A47C: 807C31FF 00000500
	v_mfma_f32_16x16x32_fp8_fp8 v[104:107], a[170:171], a[26:27], v[104:107]// 00000000A484: D3F30068 1DA235AA
	v_mfma_f32_16x16x32_fp8_fp8 v[104:107], a[172:173], a[28:29], v[104:107]// 00000000A48C: D3F30068 1DA239AC
	buffer_load_dword v75, s[20:23], 0 offen lds               // 00000000A494: E0511000 8005004B
	s_add_u32 m0, 0x600, s49                                   // 00000000A49C: 807C31FF 00000600
	v_mfma_f32_16x16x32_fp8_fp8 v[104:107], a[174:175], a[30:31], v[104:107]// 00000000A4A4: D3F30068 1DA23DAE
	v_mfma_f32_16x16x32_fp8_fp8 v[108:111], a[168:169], a[32:33], v[108:111]// 00000000A4AC: D3F3006C 1DB241A8
	buffer_load_dword v76, s[20:23], 0 offen lds               // 00000000A4B4: E0511000 8005004C
	s_add_u32 m0, 0x700, s49                                   // 00000000A4BC: 807C31FF 00000700
	v_mfma_f32_16x16x32_fp8_fp8 v[108:111], a[170:171], a[34:35], v[108:111]// 00000000A4C4: D3F3006C 1DB245AA
	v_mfma_f32_16x16x32_fp8_fp8 v[108:111], a[172:173], a[36:37], v[108:111]// 00000000A4CC: D3F3006C 1DB249AC
	buffer_load_dword v77, s[20:23], 0 offen lds               // 00000000A4D4: E0511000 8005004D
	s_add_u32 m0, 0x800, s49                                   // 00000000A4DC: 807C31FF 00000800
	v_mfma_f32_16x16x32_fp8_fp8 v[108:111], a[174:175], a[38:39], v[108:111]// 00000000A4E4: D3F3006C 1DB24DAE
	v_mfma_f32_16x16x32_fp8_fp8 v[112:115], a[168:169], a[40:41], v[112:115]// 00000000A4EC: D3F30070 1DC251A8
	buffer_load_dword v78, s[20:23], 0 offen lds               // 00000000A4F4: E0511000 8005004E
	s_add_u32 m0, 0x900, s49                                   // 00000000A4FC: 807C31FF 00000900
	v_mfma_f32_16x16x32_fp8_fp8 v[112:115], a[170:171], a[42:43], v[112:115]// 00000000A504: D3F30070 1DC255AA
	v_mfma_f32_16x16x32_fp8_fp8 v[112:115], a[172:173], a[44:45], v[112:115]// 00000000A50C: D3F30070 1DC259AC
	buffer_load_dword v79, s[20:23], 0 offen lds               // 00000000A514: E0511000 8005004F
	s_add_u32 m0, 0xa00, s49                                   // 00000000A51C: 807C31FF 00000A00
	v_mfma_f32_16x16x32_fp8_fp8 v[112:115], a[174:175], a[46:47], v[112:115]// 00000000A524: D3F30070 1DC25DAE
	v_mfma_f32_16x16x32_fp8_fp8 v[116:119], a[168:169], a[48:49], v[116:119]// 00000000A52C: D3F30074 1DD261A8
	buffer_load_dword v80, s[20:23], 0 offen lds               // 00000000A534: E0511000 80050050
	s_add_u32 m0, 0xb00, s49                                   // 00000000A53C: 807C31FF 00000B00
	v_mfma_f32_16x16x32_fp8_fp8 v[116:119], a[170:171], a[50:51], v[116:119]// 00000000A544: D3F30074 1DD265AA
	v_mfma_f32_16x16x32_fp8_fp8 v[116:119], a[172:173], a[52:53], v[116:119]// 00000000A54C: D3F30074 1DD269AC
	buffer_load_dword v81, s[20:23], 0 offen lds               // 00000000A554: E0511000 80050051
	s_add_u32 m0, 0xc00, s49                                   // 00000000A55C: 807C31FF 00000C00
	v_mfma_f32_16x16x32_fp8_fp8 v[116:119], a[174:175], a[54:55], v[116:119]// 00000000A564: D3F30074 1DD26DAE
	v_mfma_f32_16x16x32_fp8_fp8 v[120:123], a[168:169], a[56:57], v[120:123]// 00000000A56C: D3F30078 1DE271A8
	buffer_load_dword v82, s[20:23], 0 offen lds               // 00000000A574: E0511000 80050052
	s_add_u32 m0, 0xd00, s49                                   // 00000000A57C: 807C31FF 00000D00
	v_mfma_f32_16x16x32_fp8_fp8 v[120:123], a[170:171], a[58:59], v[120:123]// 00000000A584: D3F30078 1DE275AA
	v_mfma_f32_16x16x32_fp8_fp8 v[120:123], a[172:173], a[60:61], v[120:123]// 00000000A58C: D3F30078 1DE279AC
	buffer_load_dword v83, s[20:23], 0 offen lds               // 00000000A594: E0511000 80050053
	s_add_u32 m0, 0xe00, s49                                   // 00000000A59C: 807C31FF 00000E00
	v_mfma_f32_16x16x32_fp8_fp8 v[120:123], a[174:175], a[62:63], v[120:123]// 00000000A5A4: D3F30078 1DE27DAE
	v_mfma_f32_16x16x32_fp8_fp8 v[124:127], a[168:169], a[64:65], v[124:127]// 00000000A5AC: D3F3007C 1DF281A8
	buffer_load_dword v84, s[20:23], 0 offen lds               // 00000000A5B4: E0511000 80050054
	s_add_u32 m0, 0xf00, s49                                   // 00000000A5BC: 807C31FF 00000F00
	v_mfma_f32_16x16x32_fp8_fp8 v[124:127], a[170:171], a[66:67], v[124:127]// 00000000A5C4: D3F3007C 1DF285AA
	v_mfma_f32_16x16x32_fp8_fp8 v[124:127], a[172:173], a[68:69], v[124:127]// 00000000A5CC: D3F3007C 1DF289AC
	buffer_load_dword v85, s[20:23], 0 offen lds               // 00000000A5D4: E0511000 80050055
	s_add_u32 m0, 0x1000, s49                                  // 00000000A5DC: 807C31FF 00001000
	v_mfma_f32_16x16x32_fp8_fp8 v[124:127], a[174:175], a[70:71], v[124:127]// 00000000A5E4: D3F3007C 1DF28DAE
	v_mfma_f32_16x16x32_fp8_fp8 v[128:131], a[168:169], a[72:73], v[128:131]// 00000000A5EC: D3F30080 1E0291A8
	buffer_load_dword v86, s[20:23], 0 offen lds               // 00000000A5F4: E0511000 80050056
	s_add_u32 m0, 0x1100, s49                                  // 00000000A5FC: 807C31FF 00001100
	v_mfma_f32_16x16x32_fp8_fp8 v[128:131], a[170:171], a[74:75], v[128:131]// 00000000A604: D3F30080 1E0295AA
	v_mfma_f32_16x16x32_fp8_fp8 v[128:131], a[172:173], a[76:77], v[128:131]// 00000000A60C: D3F30080 1E0299AC
	buffer_load_dword v87, s[20:23], 0 offen lds               // 00000000A614: E0511000 80050057
	s_add_u32 m0, 0x1200, s49                                  // 00000000A61C: 807C31FF 00001200
	v_mfma_f32_16x16x32_fp8_fp8 v[128:131], a[174:175], a[78:79], v[128:131]// 00000000A624: D3F30080 1E029DAE
	buffer_load_dword v88, s[20:23], 0 offen lds               // 00000000A62C: E0511000 80050058
	s_add_u32 m0, 0x1300, s49                                  // 00000000A634: 807C31FF 00001300
	buffer_load_dword v89, s[20:23], 0 offen lds               // 00000000A63C: E0511000 80050059
	s_add_u32 m0, 0, s50                                       // 00000000A644: 807C3280
	s_waitcnt vmcnt(22)                                        // 00000000A648: BF8C4F76
	s_barrier                                                  // 00000000A64C: BF8A0000
	v_mfma_f32_16x16x32_fp8_fp8 v[132:135], a[176:177], a[0:1], v[132:135]// 00000000A650: D3F30084 1E1201B0
	buffer_load_dwordx4 a[168:171], v90, s[84:87], 0 offen     // 00000000A658: E05C1000 8095A85A
	v_mfma_f32_16x16x32_fp8_fp8 v[132:135], a[178:179], a[2:3], v[132:135]// 00000000A660: D3F30084 1E1205B2
	v_mfma_f32_16x16x32_fp8_fp8 v[132:135], a[180:181], a[4:5], v[132:135]// 00000000A668: D3F30084 1E1209B4
	ds_read_b128 a[80:83], v2                                  // 00000000A670: DBFE0000 50000002
	ds_read_b128 a[84:87], v2 offset:64                        // 00000000A678: DBFE0040 54000002
	v_mfma_f32_16x16x32_fp8_fp8 v[132:135], a[182:183], a[6:7], v[132:135]// 00000000A680: D3F30084 1E120DB6
	v_mfma_f32_16x16x32_fp8_fp8 v[136:139], a[176:177], a[8:9], v[136:139]// 00000000A688: D3F30088 1E2211B0
	buffer_load_dwordx4 a[172:175], v90, s[84:87], 0 offen offset:1024// 00000000A690: E05C1400 8095AC5A
	v_mfma_f32_16x16x32_fp8_fp8 v[136:139], a[178:179], a[10:11], v[136:139]// 00000000A698: D3F30088 1E2215B2
	v_mfma_f32_16x16x32_fp8_fp8 v[136:139], a[180:181], a[12:13], v[136:139]// 00000000A6A0: D3F30088 1E2219B4
	ds_read_b128 a[88:91], v2 offset:512                       // 00000000A6A8: DBFE0200 58000002
	ds_read_b128 a[92:95], v2 offset:576                       // 00000000A6B0: DBFE0240 5C000002
	v_mfma_f32_16x16x32_fp8_fp8 v[136:139], a[182:183], a[14:15], v[136:139]// 00000000A6B8: D3F30088 1E221DB6
	v_mfma_f32_16x16x32_fp8_fp8 v[140:143], a[176:177], a[16:17], v[140:143]// 00000000A6C0: D3F3008C 1E3221B0
	v_mfma_f32_16x16x32_fp8_fp8 v[140:143], a[178:179], a[18:19], v[140:143]// 00000000A6C8: D3F3008C 1E3225B2
	v_mfma_f32_16x16x32_fp8_fp8 v[140:143], a[180:181], a[20:21], v[140:143]// 00000000A6D0: D3F3008C 1E3229B4
	ds_read_b128 a[96:99], v2 offset:1024                      // 00000000A6D8: DBFE0400 60000002
	ds_read_b128 a[100:103], v2 offset:1088                    // 00000000A6E0: DBFE0440 64000002
	v_mfma_f32_16x16x32_fp8_fp8 v[140:143], a[182:183], a[22:23], v[140:143]// 00000000A6E8: D3F3008C 1E322DB6
	v_mfma_f32_16x16x32_fp8_fp8 v[144:147], a[176:177], a[24:25], v[144:147]// 00000000A6F0: D3F30090 1E4231B0
	v_mfma_f32_16x16x32_fp8_fp8 v[144:147], a[178:179], a[26:27], v[144:147]// 00000000A6F8: D3F30090 1E4235B2
	v_mfma_f32_16x16x32_fp8_fp8 v[144:147], a[180:181], a[28:29], v[144:147]// 00000000A700: D3F30090 1E4239B4
	ds_read_b128 a[104:107], v2 offset:1536                    // 00000000A708: DBFE0600 68000002
	ds_read_b128 a[108:111], v2 offset:1600                    // 00000000A710: DBFE0640 6C000002
	v_mfma_f32_16x16x32_fp8_fp8 v[144:147], a[182:183], a[30:31], v[144:147]// 00000000A718: D3F30090 1E423DB6
	v_mfma_f32_16x16x32_fp8_fp8 v[148:151], a[176:177], a[32:33], v[148:151]// 00000000A720: D3F30094 1E5241B0
	v_mfma_f32_16x16x32_fp8_fp8 v[148:151], a[178:179], a[34:35], v[148:151]// 00000000A728: D3F30094 1E5245B2
	v_mfma_f32_16x16x32_fp8_fp8 v[148:151], a[180:181], a[36:37], v[148:151]// 00000000A730: D3F30094 1E5249B4
	ds_read_b128 a[112:115], v2 offset:2048                    // 00000000A738: DBFE0800 70000002
	ds_read_b128 a[116:119], v2 offset:2112                    // 00000000A740: DBFE0840 74000002
	v_mfma_f32_16x16x32_fp8_fp8 v[148:151], a[182:183], a[38:39], v[148:151]// 00000000A748: D3F30094 1E524DB6
	v_mfma_f32_16x16x32_fp8_fp8 v[152:155], a[176:177], a[40:41], v[152:155]// 00000000A750: D3F30098 1E6251B0
	v_mfma_f32_16x16x32_fp8_fp8 v[152:155], a[178:179], a[42:43], v[152:155]// 00000000A758: D3F30098 1E6255B2
	v_mfma_f32_16x16x32_fp8_fp8 v[152:155], a[180:181], a[44:45], v[152:155]// 00000000A760: D3F30098 1E6259B4
	ds_read_b128 a[120:123], v2 offset:2560                    // 00000000A768: DBFE0A00 78000002
	ds_read_b128 a[124:127], v2 offset:2624                    // 00000000A770: DBFE0A40 7C000002
	v_mfma_f32_16x16x32_fp8_fp8 v[152:155], a[182:183], a[46:47], v[152:155]// 00000000A778: D3F30098 1E625DB6
	v_mfma_f32_16x16x32_fp8_fp8 v[156:159], a[176:177], a[48:49], v[156:159]// 00000000A780: D3F3009C 1E7261B0
	v_mfma_f32_16x16x32_fp8_fp8 v[156:159], a[178:179], a[50:51], v[156:159]// 00000000A788: D3F3009C 1E7265B2
	v_mfma_f32_16x16x32_fp8_fp8 v[156:159], a[180:181], a[52:53], v[156:159]// 00000000A790: D3F3009C 1E7269B4
	ds_read_b128 a[128:131], v2 offset:3072                    // 00000000A798: DBFE0C00 80000002
	ds_read_b128 a[132:135], v2 offset:3136                    // 00000000A7A0: DBFE0C40 84000002
	v_mfma_f32_16x16x32_fp8_fp8 v[156:159], a[182:183], a[54:55], v[156:159]// 00000000A7A8: D3F3009C 1E726DB6
	v_mfma_f32_16x16x32_fp8_fp8 v[160:163], a[176:177], a[56:57], v[160:163]// 00000000A7B0: D3F300A0 1E8271B0
	v_mfma_f32_16x16x32_fp8_fp8 v[160:163], a[178:179], a[58:59], v[160:163]// 00000000A7B8: D3F300A0 1E8275B2
	v_mfma_f32_16x16x32_fp8_fp8 v[160:163], a[180:181], a[60:61], v[160:163]// 00000000A7C0: D3F300A0 1E8279B4
	ds_read_b128 a[136:139], v2 offset:3584                    // 00000000A7C8: DBFE0E00 88000002
	ds_read_b128 a[140:143], v2 offset:3648                    // 00000000A7D0: DBFE0E40 8C000002
	v_mfma_f32_16x16x32_fp8_fp8 v[160:163], a[182:183], a[62:63], v[160:163]// 00000000A7D8: D3F300A0 1E827DB6
	v_mfma_f32_16x16x32_fp8_fp8 v[164:167], a[176:177], a[64:65], v[164:167]// 00000000A7E0: D3F300A4 1E9281B0
	s_add_u32 s60, 0x180, s80                                  // 00000000A7E8: 803C50FF 00000180
	s_cmp_lt_u32 s60, s81                                      // 00000000A7F0: BF0A513C
	s_cselect_b32 s57, s57, 0                                  // 00000000A7F4: 85398039
	v_mfma_f32_16x16x32_fp8_fp8 v[164:167], a[178:179], a[66:67], v[164:167]// 00000000A7F8: D3F300A4 1E9285B2
	s_add_u32 s60, 0x100, s80                                  // 00000000A800: 803C50FF 00000100
	s_cmp_lt_u32 s60, s81                                      // 00000000A808: BF0A513C
	s_cselect_b32 s58, s58, 0                                  // 00000000A80C: 853A803A
	v_mfma_f32_16x16x32_fp8_fp8 v[164:167], a[180:181], a[68:69], v[164:167]// 00000000A810: D3F300A4 1E9289B4
	ds_read_b128 a[144:147], v2 offset:4096                    // 00000000A818: DBFE1000 90000002
	ds_read_b128 a[148:151], v2 offset:4160                    // 00000000A820: DBFE1040 94000002
	s_add_u32 s60, 0x100, s80                                  // 00000000A828: 803C50FF 00000100
	s_cmp_lt_u32 s60, s81                                      // 00000000A830: BF0A513C
	s_cselect_b32 s83, s83, 0                                  // 00000000A834: 85538053
	v_mfma_f32_16x16x32_fp8_fp8 v[164:167], a[182:183], a[70:71], v[164:167]// 00000000A838: D3F300A4 1E928DB6
	s_add_u32 s24, s58, s24                                    // 00000000A840: 8018183A
	s_addc_u32 s25, 0, s25                                     // 00000000A844: 82191980
	v_mfma_f32_16x16x32_fp8_fp8 v[168:171], a[176:177], a[72:73], v[168:171]// 00000000A848: D3F300A8 1EA291B0
	s_add_u32 s20, s57, s20                                    // 00000000A850: 80141439
	s_addc_u32 s21, 0, s21                                     // 00000000A854: 82151580
	v_mfma_f32_16x16x32_fp8_fp8 v[168:171], a[178:179], a[74:75], v[168:171]// 00000000A858: D3F300A8 1EA295B2
	s_add_u32 s84, s83, s84                                    // 00000000A860: 80545453
	s_addc_u32 s85, 0, s85                                     // 00000000A864: 82555580
	v_mfma_f32_16x16x32_fp8_fp8 v[168:171], a[180:181], a[76:77], v[168:171]// 00000000A868: D3F300A8 1EA299B4
	ds_read_b128 a[152:155], v2 offset:4608                    // 00000000A870: DBFE1200 98000002
	ds_read_b128 a[156:159], v2 offset:4672                    // 00000000A878: DBFE1240 9C000002
	v_mfma_f32_16x16x32_fp8_fp8 v[168:171], a[182:183], a[78:79], v[168:171]// 00000000A880: D3F300A8 1EA29DB6
	s_addk_i32 s80, 0x80                                       // 00000000A888: B7500080
	s_cmp_lt_i32 s80, s81                                      // 00000000A88C: BF045150
	s_cbranch_scc0 label_234E                                  // 00000000A890: BF8403A6
	s_waitcnt vmcnt(22) lgkmcnt(0)                             // 00000000A894: BF8C4076
	v_mfma_f32_16x16x32_fp8_fp8 v[92:95], a[160:161], a[80:81], v[92:95]// 00000000A898: D3F3005C 1D72A1A0
	buffer_load_dwordx4 a[176:179], v90, s[24:27], 0 offen     // 00000000A8A0: E05C1000 8086B05A
	v_mfma_f32_16x16x32_fp8_fp8 v[92:95], a[162:163], a[82:83], v[92:95]// 00000000A8A8: D3F3005C 1D72A5A2
	v_mfma_f32_16x16x32_fp8_fp8 v[92:95], a[164:165], a[84:85], v[92:95]// 00000000A8B0: D3F3005C 1D72A9A4
	v_mfma_f32_16x16x32_fp8_fp8 v[92:95], a[166:167], a[86:87], v[92:95]// 00000000A8B8: D3F3005C 1D72ADA6
	v_mfma_f32_16x16x32_fp8_fp8 v[96:99], a[160:161], a[88:89], v[96:99]// 00000000A8C0: D3F30060 1D82B1A0
	buffer_load_dwordx4 a[180:183], v90, s[24:27], 0 offen offset:1024// 00000000A8C8: E05C1400 8086B45A
	buffer_load_dword v70, s[20:23], 0 offen lds               // 00000000A8D0: E0511000 80050046
	s_add_u32 m0, 0x100, s50                                   // 00000000A8D8: 807C32FF 00000100
	v_mfma_f32_16x16x32_fp8_fp8 v[96:99], a[162:163], a[90:91], v[96:99]// 00000000A8E0: D3F30060 1D82B5A2
	v_mfma_f32_16x16x32_fp8_fp8 v[96:99], a[164:165], a[92:93], v[96:99]// 00000000A8E8: D3F30060 1D82B9A4
	buffer_load_dword v71, s[20:23], 0 offen lds               // 00000000A8F0: E0511000 80050047
	s_add_u32 m0, 0x200, s50                                   // 00000000A8F8: 807C32FF 00000200
	v_mfma_f32_16x16x32_fp8_fp8 v[96:99], a[166:167], a[94:95], v[96:99]// 00000000A900: D3F30060 1D82BDA6
	v_mfma_f32_16x16x32_fp8_fp8 v[100:103], a[160:161], a[96:97], v[100:103]// 00000000A908: D3F30064 1D92C1A0
	buffer_load_dword v72, s[20:23], 0 offen lds               // 00000000A910: E0511000 80050048
	s_add_u32 m0, 0x300, s50                                   // 00000000A918: 807C32FF 00000300
	v_mfma_f32_16x16x32_fp8_fp8 v[100:103], a[162:163], a[98:99], v[100:103]// 00000000A920: D3F30064 1D92C5A2
	v_mfma_f32_16x16x32_fp8_fp8 v[100:103], a[164:165], a[100:101], v[100:103]// 00000000A928: D3F30064 1D92C9A4
	buffer_load_dword v73, s[20:23], 0 offen lds               // 00000000A930: E0511000 80050049
	s_add_u32 m0, 0x400, s50                                   // 00000000A938: 807C32FF 00000400
	v_mfma_f32_16x16x32_fp8_fp8 v[100:103], a[166:167], a[102:103], v[100:103]// 00000000A940: D3F30064 1D92CDA6
	v_mfma_f32_16x16x32_fp8_fp8 v[104:107], a[160:161], a[104:105], v[104:107]// 00000000A948: D3F30068 1DA2D1A0
	buffer_load_dword v74, s[20:23], 0 offen lds               // 00000000A950: E0511000 8005004A
	s_add_u32 m0, 0x500, s50                                   // 00000000A958: 807C32FF 00000500
	v_mfma_f32_16x16x32_fp8_fp8 v[104:107], a[162:163], a[106:107], v[104:107]// 00000000A960: D3F30068 1DA2D5A2
	v_mfma_f32_16x16x32_fp8_fp8 v[104:107], a[164:165], a[108:109], v[104:107]// 00000000A968: D3F30068 1DA2D9A4
	buffer_load_dword v75, s[20:23], 0 offen lds               // 00000000A970: E0511000 8005004B
	s_add_u32 m0, 0x600, s50                                   // 00000000A978: 807C32FF 00000600
	v_mfma_f32_16x16x32_fp8_fp8 v[104:107], a[166:167], a[110:111], v[104:107]// 00000000A980: D3F30068 1DA2DDA6
	v_mfma_f32_16x16x32_fp8_fp8 v[108:111], a[160:161], a[112:113], v[108:111]// 00000000A988: D3F3006C 1DB2E1A0
	buffer_load_dword v76, s[20:23], 0 offen lds               // 00000000A990: E0511000 8005004C
	s_add_u32 m0, 0x700, s50                                   // 00000000A998: 807C32FF 00000700
	v_mfma_f32_16x16x32_fp8_fp8 v[108:111], a[162:163], a[114:115], v[108:111]// 00000000A9A0: D3F3006C 1DB2E5A2
	v_mfma_f32_16x16x32_fp8_fp8 v[108:111], a[164:165], a[116:117], v[108:111]// 00000000A9A8: D3F3006C 1DB2E9A4
	buffer_load_dword v77, s[20:23], 0 offen lds               // 00000000A9B0: E0511000 8005004D
	s_add_u32 m0, 0x800, s50                                   // 00000000A9B8: 807C32FF 00000800
	v_mfma_f32_16x16x32_fp8_fp8 v[108:111], a[166:167], a[118:119], v[108:111]// 00000000A9C0: D3F3006C 1DB2EDA6
	v_mfma_f32_16x16x32_fp8_fp8 v[112:115], a[160:161], a[120:121], v[112:115]// 00000000A9C8: D3F30070 1DC2F1A0
	buffer_load_dword v78, s[20:23], 0 offen lds               // 00000000A9D0: E0511000 8005004E
	s_add_u32 m0, 0x900, s50                                   // 00000000A9D8: 807C32FF 00000900
	v_mfma_f32_16x16x32_fp8_fp8 v[112:115], a[162:163], a[122:123], v[112:115]// 00000000A9E0: D3F30070 1DC2F5A2
	v_mfma_f32_16x16x32_fp8_fp8 v[112:115], a[164:165], a[124:125], v[112:115]// 00000000A9E8: D3F30070 1DC2F9A4
	buffer_load_dword v79, s[20:23], 0 offen lds               // 00000000A9F0: E0511000 8005004F
	s_add_u32 m0, 0xa00, s50                                   // 00000000A9F8: 807C32FF 00000A00
	v_mfma_f32_16x16x32_fp8_fp8 v[112:115], a[166:167], a[126:127], v[112:115]// 00000000AA00: D3F30070 1DC2FDA6
	v_mfma_f32_16x16x32_fp8_fp8 v[116:119], a[160:161], a[128:129], v[116:119]// 00000000AA08: D3F30074 1DD301A0
	buffer_load_dword v80, s[20:23], 0 offen lds               // 00000000AA10: E0511000 80050050
	s_add_u32 m0, 0xb00, s50                                   // 00000000AA18: 807C32FF 00000B00
	v_mfma_f32_16x16x32_fp8_fp8 v[116:119], a[162:163], a[130:131], v[116:119]// 00000000AA20: D3F30074 1DD305A2
	v_mfma_f32_16x16x32_fp8_fp8 v[116:119], a[164:165], a[132:133], v[116:119]// 00000000AA28: D3F30074 1DD309A4
	buffer_load_dword v81, s[20:23], 0 offen lds               // 00000000AA30: E0511000 80050051
	s_add_u32 m0, 0xc00, s50                                   // 00000000AA38: 807C32FF 00000C00
	v_mfma_f32_16x16x32_fp8_fp8 v[116:119], a[166:167], a[134:135], v[116:119]// 00000000AA40: D3F30074 1DD30DA6
	v_mfma_f32_16x16x32_fp8_fp8 v[120:123], a[160:161], a[136:137], v[120:123]// 00000000AA48: D3F30078 1DE311A0
	buffer_load_dword v82, s[20:23], 0 offen lds               // 00000000AA50: E0511000 80050052
	s_add_u32 m0, 0xd00, s50                                   // 00000000AA58: 807C32FF 00000D00
	v_mfma_f32_16x16x32_fp8_fp8 v[120:123], a[162:163], a[138:139], v[120:123]// 00000000AA60: D3F30078 1DE315A2
	v_mfma_f32_16x16x32_fp8_fp8 v[120:123], a[164:165], a[140:141], v[120:123]// 00000000AA68: D3F30078 1DE319A4
	buffer_load_dword v83, s[20:23], 0 offen lds               // 00000000AA70: E0511000 80050053
	s_add_u32 m0, 0xe00, s50                                   // 00000000AA78: 807C32FF 00000E00
	v_mfma_f32_16x16x32_fp8_fp8 v[120:123], a[166:167], a[142:143], v[120:123]// 00000000AA80: D3F30078 1DE31DA6
	v_mfma_f32_16x16x32_fp8_fp8 v[124:127], a[160:161], a[144:145], v[124:127]// 00000000AA88: D3F3007C 1DF321A0
	buffer_load_dword v84, s[20:23], 0 offen lds               // 00000000AA90: E0511000 80050054
	s_add_u32 m0, 0xf00, s50                                   // 00000000AA98: 807C32FF 00000F00
	v_mfma_f32_16x16x32_fp8_fp8 v[124:127], a[162:163], a[146:147], v[124:127]// 00000000AAA0: D3F3007C 1DF325A2
	v_mfma_f32_16x16x32_fp8_fp8 v[124:127], a[164:165], a[148:149], v[124:127]// 00000000AAA8: D3F3007C 1DF329A4
	buffer_load_dword v85, s[20:23], 0 offen lds               // 00000000AAB0: E0511000 80050055
	s_add_u32 m0, 0x1000, s50                                  // 00000000AAB8: 807C32FF 00001000
	v_mfma_f32_16x16x32_fp8_fp8 v[124:127], a[166:167], a[150:151], v[124:127]// 00000000AAC0: D3F3007C 1DF32DA6
	v_mfma_f32_16x16x32_fp8_fp8 v[128:131], a[160:161], a[152:153], v[128:131]// 00000000AAC8: D3F30080 1E0331A0
	buffer_load_dword v86, s[20:23], 0 offen lds               // 00000000AAD0: E0511000 80050056
	s_add_u32 m0, 0x1100, s50                                  // 00000000AAD8: 807C32FF 00001100
	v_mfma_f32_16x16x32_fp8_fp8 v[128:131], a[162:163], a[154:155], v[128:131]// 00000000AAE0: D3F30080 1E0335A2
	v_mfma_f32_16x16x32_fp8_fp8 v[128:131], a[164:165], a[156:157], v[128:131]// 00000000AAE8: D3F30080 1E0339A4
	buffer_load_dword v87, s[20:23], 0 offen lds               // 00000000AAF0: E0511000 80050057
	s_add_u32 m0, 0x1200, s50                                  // 00000000AAF8: 807C32FF 00001200
	v_mfma_f32_16x16x32_fp8_fp8 v[128:131], a[166:167], a[158:159], v[128:131]// 00000000AB00: D3F30080 1E033DA6
	buffer_load_dword v88, s[20:23], 0 offen lds               // 00000000AB08: E0511000 80050058
	s_add_u32 m0, 0x1300, s50                                  // 00000000AB10: 807C32FF 00001300
	buffer_load_dword v89, s[20:23], 0 offen lds               // 00000000AB18: E0511000 80050059
	s_add_u32 m0, 0, s48                                       // 00000000AB20: 807C3080
	s_waitcnt vmcnt(22)                                        // 00000000AB24: BF8C4F76
	s_barrier                                                  // 00000000AB28: BF8A0000
	v_mfma_f32_16x16x32_fp8_fp8 v[132:135], a[168:169], a[80:81], v[132:135]// 00000000AB2C: D3F30084 1E12A1A8
	buffer_load_dwordx4 a[160:163], v90, s[84:87], 0 offen     // 00000000AB34: E05C1000 8095A05A
	v_mfma_f32_16x16x32_fp8_fp8 v[132:135], a[170:171], a[82:83], v[132:135]// 00000000AB3C: D3F30084 1E12A5AA
	v_mfma_f32_16x16x32_fp8_fp8 v[132:135], a[172:173], a[84:85], v[132:135]// 00000000AB44: D3F30084 1E12A9AC
	ds_read_b128 a[0:3], v2 offset:20608                       // 00000000AB4C: DBFE5080 00000002
	ds_read_b128 a[4:7], v2 offset:20672                       // 00000000AB54: DBFE50C0 04000002
	v_mfma_f32_16x16x32_fp8_fp8 v[132:135], a[174:175], a[86:87], v[132:135]// 00000000AB5C: D3F30084 1E12ADAE
	v_mfma_f32_16x16x32_fp8_fp8 v[136:139], a[168:169], a[88:89], v[136:139]// 00000000AB64: D3F30088 1E22B1A8
	buffer_load_dwordx4 a[164:167], v90, s[84:87], 0 offen offset:1024// 00000000AB6C: E05C1400 8095A45A
	v_mfma_f32_16x16x32_fp8_fp8 v[136:139], a[170:171], a[90:91], v[136:139]// 00000000AB74: D3F30088 1E22B5AA
	v_mfma_f32_16x16x32_fp8_fp8 v[136:139], a[172:173], a[92:93], v[136:139]// 00000000AB7C: D3F30088 1E22B9AC
	ds_read_b128 a[8:11], v2 offset:21120                      // 00000000AB84: DBFE5280 08000002
	ds_read_b128 a[12:15], v2 offset:21184                     // 00000000AB8C: DBFE52C0 0C000002
	v_mfma_f32_16x16x32_fp8_fp8 v[136:139], a[174:175], a[94:95], v[136:139]// 00000000AB94: D3F30088 1E22BDAE
	v_mfma_f32_16x16x32_fp8_fp8 v[140:143], a[168:169], a[96:97], v[140:143]// 00000000AB9C: D3F3008C 1E32C1A8
	v_mfma_f32_16x16x32_fp8_fp8 v[140:143], a[170:171], a[98:99], v[140:143]// 00000000ABA4: D3F3008C 1E32C5AA
	v_mfma_f32_16x16x32_fp8_fp8 v[140:143], a[172:173], a[100:101], v[140:143]// 00000000ABAC: D3F3008C 1E32C9AC
	ds_read_b128 a[16:19], v2 offset:21632                     // 00000000ABB4: DBFE5480 10000002
	ds_read_b128 a[20:23], v2 offset:21696                     // 00000000ABBC: DBFE54C0 14000002
	v_mfma_f32_16x16x32_fp8_fp8 v[140:143], a[174:175], a[102:103], v[140:143]// 00000000ABC4: D3F3008C 1E32CDAE
	v_mfma_f32_16x16x32_fp8_fp8 v[144:147], a[168:169], a[104:105], v[144:147]// 00000000ABCC: D3F30090 1E42D1A8
	v_mfma_f32_16x16x32_fp8_fp8 v[144:147], a[170:171], a[106:107], v[144:147]// 00000000ABD4: D3F30090 1E42D5AA
	v_mfma_f32_16x16x32_fp8_fp8 v[144:147], a[172:173], a[108:109], v[144:147]// 00000000ABDC: D3F30090 1E42D9AC
	ds_read_b128 a[24:27], v2 offset:22144                     // 00000000ABE4: DBFE5680 18000002
	ds_read_b128 a[28:31], v2 offset:22208                     // 00000000ABEC: DBFE56C0 1C000002
	v_mfma_f32_16x16x32_fp8_fp8 v[144:147], a[174:175], a[110:111], v[144:147]// 00000000ABF4: D3F30090 1E42DDAE
	v_mfma_f32_16x16x32_fp8_fp8 v[148:151], a[168:169], a[112:113], v[148:151]// 00000000ABFC: D3F30094 1E52E1A8
	v_mfma_f32_16x16x32_fp8_fp8 v[148:151], a[170:171], a[114:115], v[148:151]// 00000000AC04: D3F30094 1E52E5AA
	v_mfma_f32_16x16x32_fp8_fp8 v[148:151], a[172:173], a[116:117], v[148:151]// 00000000AC0C: D3F30094 1E52E9AC
	ds_read_b128 a[32:35], v2 offset:22656                     // 00000000AC14: DBFE5880 20000002
	ds_read_b128 a[36:39], v2 offset:22720                     // 00000000AC1C: DBFE58C0 24000002
	v_mfma_f32_16x16x32_fp8_fp8 v[148:151], a[174:175], a[118:119], v[148:151]// 00000000AC24: D3F30094 1E52EDAE
	v_mfma_f32_16x16x32_fp8_fp8 v[152:155], a[168:169], a[120:121], v[152:155]// 00000000AC2C: D3F30098 1E62F1A8
	v_mfma_f32_16x16x32_fp8_fp8 v[152:155], a[170:171], a[122:123], v[152:155]// 00000000AC34: D3F30098 1E62F5AA
	v_mfma_f32_16x16x32_fp8_fp8 v[152:155], a[172:173], a[124:125], v[152:155]// 00000000AC3C: D3F30098 1E62F9AC
	ds_read_b128 a[40:43], v2 offset:23168                     // 00000000AC44: DBFE5A80 28000002
	ds_read_b128 a[44:47], v2 offset:23232                     // 00000000AC4C: DBFE5AC0 2C000002
	v_mfma_f32_16x16x32_fp8_fp8 v[152:155], a[174:175], a[126:127], v[152:155]// 00000000AC54: D3F30098 1E62FDAE
	v_mfma_f32_16x16x32_fp8_fp8 v[156:159], a[168:169], a[128:129], v[156:159]// 00000000AC5C: D3F3009C 1E7301A8
	v_mfma_f32_16x16x32_fp8_fp8 v[156:159], a[170:171], a[130:131], v[156:159]// 00000000AC64: D3F3009C 1E7305AA
	v_mfma_f32_16x16x32_fp8_fp8 v[156:159], a[172:173], a[132:133], v[156:159]// 00000000AC6C: D3F3009C 1E7309AC
	ds_read_b128 a[48:51], v2 offset:23680                     // 00000000AC74: DBFE5C80 30000002
	ds_read_b128 a[52:55], v2 offset:23744                     // 00000000AC7C: DBFE5CC0 34000002
	v_mfma_f32_16x16x32_fp8_fp8 v[156:159], a[174:175], a[134:135], v[156:159]// 00000000AC84: D3F3009C 1E730DAE
	v_mfma_f32_16x16x32_fp8_fp8 v[160:163], a[168:169], a[136:137], v[160:163]// 00000000AC8C: D3F300A0 1E8311A8
	v_mfma_f32_16x16x32_fp8_fp8 v[160:163], a[170:171], a[138:139], v[160:163]// 00000000AC94: D3F300A0 1E8315AA
	v_mfma_f32_16x16x32_fp8_fp8 v[160:163], a[172:173], a[140:141], v[160:163]// 00000000AC9C: D3F300A0 1E8319AC
	ds_read_b128 a[56:59], v2 offset:24192                     // 00000000ACA4: DBFE5E80 38000002
	ds_read_b128 a[60:63], v2 offset:24256                     // 00000000ACAC: DBFE5EC0 3C000002
	v_mfma_f32_16x16x32_fp8_fp8 v[160:163], a[174:175], a[142:143], v[160:163]// 00000000ACB4: D3F300A0 1E831DAE
	v_mfma_f32_16x16x32_fp8_fp8 v[164:167], a[168:169], a[144:145], v[164:167]// 00000000ACBC: D3F300A4 1E9321A8
	s_add_u32 s60, 0x180, s80                                  // 00000000ACC4: 803C50FF 00000180
	s_cmp_lt_u32 s60, s81                                      // 00000000ACCC: BF0A513C
	s_cselect_b32 s57, s57, 0                                  // 00000000ACD0: 85398039
	v_mfma_f32_16x16x32_fp8_fp8 v[164:167], a[170:171], a[146:147], v[164:167]// 00000000ACD4: D3F300A4 1E9325AA
	s_add_u32 s60, 0x100, s80                                  // 00000000ACDC: 803C50FF 00000100
	s_cmp_lt_u32 s60, s81                                      // 00000000ACE4: BF0A513C
	s_cselect_b32 s58, s58, 0                                  // 00000000ACE8: 853A803A
	v_mfma_f32_16x16x32_fp8_fp8 v[164:167], a[172:173], a[148:149], v[164:167]// 00000000ACEC: D3F300A4 1E9329AC
	ds_read_b128 a[64:67], v2 offset:24704                     // 00000000ACF4: DBFE6080 40000002
	ds_read_b128 a[68:71], v2 offset:24768                     // 00000000ACFC: DBFE60C0 44000002
	s_add_u32 s60, 0x100, s80                                  // 00000000AD04: 803C50FF 00000100
	s_cmp_lt_u32 s60, s81                                      // 00000000AD0C: BF0A513C
	s_cselect_b32 s83, s83, 0                                  // 00000000AD10: 85538053
	v_mfma_f32_16x16x32_fp8_fp8 v[164:167], a[174:175], a[150:151], v[164:167]// 00000000AD14: D3F300A4 1E932DAE
	s_add_u32 s24, s58, s24                                    // 00000000AD1C: 8018183A
	s_addc_u32 s25, 0, s25                                     // 00000000AD20: 82191980
	v_mfma_f32_16x16x32_fp8_fp8 v[168:171], a[168:169], a[152:153], v[168:171]// 00000000AD24: D3F300A8 1EA331A8
	s_add_u32 s20, s57, s20                                    // 00000000AD2C: 80141439
	s_addc_u32 s21, 0, s21                                     // 00000000AD30: 82151580
	v_mfma_f32_16x16x32_fp8_fp8 v[168:171], a[170:171], a[154:155], v[168:171]// 00000000AD34: D3F300A8 1EA335AA
	s_add_u32 s84, s83, s84                                    // 00000000AD3C: 80545453
	s_addc_u32 s85, 0, s85                                     // 00000000AD40: 82555580
	v_mfma_f32_16x16x32_fp8_fp8 v[168:171], a[172:173], a[156:157], v[168:171]// 00000000AD44: D3F300A8 1EA339AC
	ds_read_b128 a[72:75], v2 offset:25216                     // 00000000AD4C: DBFE6280 48000002
	ds_read_b128 a[76:79], v2 offset:25280                     // 00000000AD54: DBFE62C0 4C000002
	v_mfma_f32_16x16x32_fp8_fp8 v[168:171], a[174:175], a[158:159], v[168:171]// 00000000AD5C: D3F300A8 1EA33DAE
	s_addk_i32 s80, 0x80                                       // 00000000AD64: B7500080
	s_cmp_lt_i32 s80, s81                                      // 00000000AD68: BF045150
	s_cbranch_scc0 label_234E                                  // 00000000AD6C: BF84026F
	s_waitcnt vmcnt(22) lgkmcnt(0)                             // 00000000AD70: BF8C4076
	v_mfma_f32_16x16x32_fp8_fp8 v[92:95], a[176:177], a[0:1], v[92:95]// 00000000AD74: D3F3005C 1D7201B0
	buffer_load_dwordx4 a[168:171], v90, s[24:27], 0 offen     // 00000000AD7C: E05C1000 8086A85A
	v_mfma_f32_16x16x32_fp8_fp8 v[92:95], a[178:179], a[2:3], v[92:95]// 00000000AD84: D3F3005C 1D7205B2
	v_mfma_f32_16x16x32_fp8_fp8 v[92:95], a[180:181], a[4:5], v[92:95]// 00000000AD8C: D3F3005C 1D7209B4
	v_mfma_f32_16x16x32_fp8_fp8 v[92:95], a[182:183], a[6:7], v[92:95]// 00000000AD94: D3F3005C 1D720DB6
	v_mfma_f32_16x16x32_fp8_fp8 v[96:99], a[176:177], a[8:9], v[96:99]// 00000000AD9C: D3F30060 1D8211B0
	buffer_load_dwordx4 a[172:175], v90, s[24:27], 0 offen offset:1024// 00000000ADA4: E05C1400 8086AC5A
	buffer_load_dword v70, s[20:23], 0 offen lds               // 00000000ADAC: E0511000 80050046
	s_add_u32 m0, 0x100, s48                                   // 00000000ADB4: 807C30FF 00000100
	v_mfma_f32_16x16x32_fp8_fp8 v[96:99], a[178:179], a[10:11], v[96:99]// 00000000ADBC: D3F30060 1D8215B2
	v_mfma_f32_16x16x32_fp8_fp8 v[96:99], a[180:181], a[12:13], v[96:99]// 00000000ADC4: D3F30060 1D8219B4
	buffer_load_dword v71, s[20:23], 0 offen lds               // 00000000ADCC: E0511000 80050047
	s_add_u32 m0, 0x200, s48                                   // 00000000ADD4: 807C30FF 00000200
	v_mfma_f32_16x16x32_fp8_fp8 v[96:99], a[182:183], a[14:15], v[96:99]// 00000000ADDC: D3F30060 1D821DB6
	v_mfma_f32_16x16x32_fp8_fp8 v[100:103], a[176:177], a[16:17], v[100:103]// 00000000ADE4: D3F30064 1D9221B0
	buffer_load_dword v72, s[20:23], 0 offen lds               // 00000000ADEC: E0511000 80050048
	s_add_u32 m0, 0x300, s48                                   // 00000000ADF4: 807C30FF 00000300
	v_mfma_f32_16x16x32_fp8_fp8 v[100:103], a[178:179], a[18:19], v[100:103]// 00000000ADFC: D3F30064 1D9225B2
	v_mfma_f32_16x16x32_fp8_fp8 v[100:103], a[180:181], a[20:21], v[100:103]// 00000000AE04: D3F30064 1D9229B4
	buffer_load_dword v73, s[20:23], 0 offen lds               // 00000000AE0C: E0511000 80050049
	s_add_u32 m0, 0x400, s48                                   // 00000000AE14: 807C30FF 00000400
	v_mfma_f32_16x16x32_fp8_fp8 v[100:103], a[182:183], a[22:23], v[100:103]// 00000000AE1C: D3F30064 1D922DB6
	v_mfma_f32_16x16x32_fp8_fp8 v[104:107], a[176:177], a[24:25], v[104:107]// 00000000AE24: D3F30068 1DA231B0
	buffer_load_dword v74, s[20:23], 0 offen lds               // 00000000AE2C: E0511000 8005004A
	s_add_u32 m0, 0x500, s48                                   // 00000000AE34: 807C30FF 00000500
	v_mfma_f32_16x16x32_fp8_fp8 v[104:107], a[178:179], a[26:27], v[104:107]// 00000000AE3C: D3F30068 1DA235B2
	v_mfma_f32_16x16x32_fp8_fp8 v[104:107], a[180:181], a[28:29], v[104:107]// 00000000AE44: D3F30068 1DA239B4
	buffer_load_dword v75, s[20:23], 0 offen lds               // 00000000AE4C: E0511000 8005004B
	s_add_u32 m0, 0x600, s48                                   // 00000000AE54: 807C30FF 00000600
	v_mfma_f32_16x16x32_fp8_fp8 v[104:107], a[182:183], a[30:31], v[104:107]// 00000000AE5C: D3F30068 1DA23DB6
	v_mfma_f32_16x16x32_fp8_fp8 v[108:111], a[176:177], a[32:33], v[108:111]// 00000000AE64: D3F3006C 1DB241B0
	buffer_load_dword v76, s[20:23], 0 offen lds               // 00000000AE6C: E0511000 8005004C
	s_add_u32 m0, 0x700, s48                                   // 00000000AE74: 807C30FF 00000700
	v_mfma_f32_16x16x32_fp8_fp8 v[108:111], a[178:179], a[34:35], v[108:111]// 00000000AE7C: D3F3006C 1DB245B2
	v_mfma_f32_16x16x32_fp8_fp8 v[108:111], a[180:181], a[36:37], v[108:111]// 00000000AE84: D3F3006C 1DB249B4
	buffer_load_dword v77, s[20:23], 0 offen lds               // 00000000AE8C: E0511000 8005004D
	s_add_u32 m0, 0x800, s48                                   // 00000000AE94: 807C30FF 00000800
	v_mfma_f32_16x16x32_fp8_fp8 v[108:111], a[182:183], a[38:39], v[108:111]// 00000000AE9C: D3F3006C 1DB24DB6
	v_mfma_f32_16x16x32_fp8_fp8 v[112:115], a[176:177], a[40:41], v[112:115]// 00000000AEA4: D3F30070 1DC251B0
	buffer_load_dword v78, s[20:23], 0 offen lds               // 00000000AEAC: E0511000 8005004E
	s_add_u32 m0, 0x900, s48                                   // 00000000AEB4: 807C30FF 00000900
	v_mfma_f32_16x16x32_fp8_fp8 v[112:115], a[178:179], a[42:43], v[112:115]// 00000000AEBC: D3F30070 1DC255B2
	v_mfma_f32_16x16x32_fp8_fp8 v[112:115], a[180:181], a[44:45], v[112:115]// 00000000AEC4: D3F30070 1DC259B4
	buffer_load_dword v79, s[20:23], 0 offen lds               // 00000000AECC: E0511000 8005004F
	s_add_u32 m0, 0xa00, s48                                   // 00000000AED4: 807C30FF 00000A00
	v_mfma_f32_16x16x32_fp8_fp8 v[112:115], a[182:183], a[46:47], v[112:115]// 00000000AEDC: D3F30070 1DC25DB6
	v_mfma_f32_16x16x32_fp8_fp8 v[116:119], a[176:177], a[48:49], v[116:119]// 00000000AEE4: D3F30074 1DD261B0
	buffer_load_dword v80, s[20:23], 0 offen lds               // 00000000AEEC: E0511000 80050050
	s_add_u32 m0, 0xb00, s48                                   // 00000000AEF4: 807C30FF 00000B00
	v_mfma_f32_16x16x32_fp8_fp8 v[116:119], a[178:179], a[50:51], v[116:119]// 00000000AEFC: D3F30074 1DD265B2
	v_mfma_f32_16x16x32_fp8_fp8 v[116:119], a[180:181], a[52:53], v[116:119]// 00000000AF04: D3F30074 1DD269B4
	buffer_load_dword v81, s[20:23], 0 offen lds               // 00000000AF0C: E0511000 80050051
	s_add_u32 m0, 0xc00, s48                                   // 00000000AF14: 807C30FF 00000C00
	v_mfma_f32_16x16x32_fp8_fp8 v[116:119], a[182:183], a[54:55], v[116:119]// 00000000AF1C: D3F30074 1DD26DB6
	v_mfma_f32_16x16x32_fp8_fp8 v[120:123], a[176:177], a[56:57], v[120:123]// 00000000AF24: D3F30078 1DE271B0
	buffer_load_dword v82, s[20:23], 0 offen lds               // 00000000AF2C: E0511000 80050052
	s_add_u32 m0, 0xd00, s48                                   // 00000000AF34: 807C30FF 00000D00
	v_mfma_f32_16x16x32_fp8_fp8 v[120:123], a[178:179], a[58:59], v[120:123]// 00000000AF3C: D3F30078 1DE275B2
	v_mfma_f32_16x16x32_fp8_fp8 v[120:123], a[180:181], a[60:61], v[120:123]// 00000000AF44: D3F30078 1DE279B4
	buffer_load_dword v83, s[20:23], 0 offen lds               // 00000000AF4C: E0511000 80050053
	s_add_u32 m0, 0xe00, s48                                   // 00000000AF54: 807C30FF 00000E00
	v_mfma_f32_16x16x32_fp8_fp8 v[120:123], a[182:183], a[62:63], v[120:123]// 00000000AF5C: D3F30078 1DE27DB6
	v_mfma_f32_16x16x32_fp8_fp8 v[124:127], a[176:177], a[64:65], v[124:127]// 00000000AF64: D3F3007C 1DF281B0
	buffer_load_dword v84, s[20:23], 0 offen lds               // 00000000AF6C: E0511000 80050054
	s_add_u32 m0, 0xf00, s48                                   // 00000000AF74: 807C30FF 00000F00
	v_mfma_f32_16x16x32_fp8_fp8 v[124:127], a[178:179], a[66:67], v[124:127]// 00000000AF7C: D3F3007C 1DF285B2
	v_mfma_f32_16x16x32_fp8_fp8 v[124:127], a[180:181], a[68:69], v[124:127]// 00000000AF84: D3F3007C 1DF289B4
	buffer_load_dword v85, s[20:23], 0 offen lds               // 00000000AF8C: E0511000 80050055
	s_add_u32 m0, 0x1000, s48                                  // 00000000AF94: 807C30FF 00001000
	v_mfma_f32_16x16x32_fp8_fp8 v[124:127], a[182:183], a[70:71], v[124:127]// 00000000AF9C: D3F3007C 1DF28DB6
	v_mfma_f32_16x16x32_fp8_fp8 v[128:131], a[176:177], a[72:73], v[128:131]// 00000000AFA4: D3F30080 1E0291B0
	buffer_load_dword v86, s[20:23], 0 offen lds               // 00000000AFAC: E0511000 80050056
	s_add_u32 m0, 0x1100, s48                                  // 00000000AFB4: 807C30FF 00001100
	v_mfma_f32_16x16x32_fp8_fp8 v[128:131], a[178:179], a[74:75], v[128:131]// 00000000AFBC: D3F30080 1E0295B2
	v_mfma_f32_16x16x32_fp8_fp8 v[128:131], a[180:181], a[76:77], v[128:131]// 00000000AFC4: D3F30080 1E0299B4
	buffer_load_dword v87, s[20:23], 0 offen lds               // 00000000AFCC: E0511000 80050057
	s_add_u32 m0, 0x1200, s48                                  // 00000000AFD4: 807C30FF 00001200
	v_mfma_f32_16x16x32_fp8_fp8 v[128:131], a[182:183], a[78:79], v[128:131]// 00000000AFDC: D3F30080 1E029DB6
	buffer_load_dword v88, s[20:23], 0 offen lds               // 00000000AFE4: E0511000 80050058
	s_add_u32 m0, 0x1300, s48                                  // 00000000AFEC: 807C30FF 00001300
	buffer_load_dword v89, s[20:23], 0 offen lds               // 00000000AFF4: E0511000 80050059
	s_add_u32 m0, 0, s49                                       // 00000000AFFC: 807C3180
	s_waitcnt vmcnt(22)                                        // 00000000B000: BF8C4F76
	s_barrier                                                  // 00000000B004: BF8A0000
	v_mfma_f32_16x16x32_fp8_fp8 v[132:135], a[160:161], a[0:1], v[132:135]// 00000000B008: D3F30084 1E1201A0
	buffer_load_dwordx4 a[176:179], v90, s[84:87], 0 offen     // 00000000B010: E05C1000 8095B05A
	v_mfma_f32_16x16x32_fp8_fp8 v[132:135], a[162:163], a[2:3], v[132:135]// 00000000B018: D3F30084 1E1205A2
	v_mfma_f32_16x16x32_fp8_fp8 v[132:135], a[164:165], a[4:5], v[132:135]// 00000000B020: D3F30084 1E1209A4
	ds_read_b128 a[80:83], v2 offset:41216                     // 00000000B028: DBFEA100 50000002
	ds_read_b128 a[84:87], v2 offset:41280                     // 00000000B030: DBFEA140 54000002
	v_mfma_f32_16x16x32_fp8_fp8 v[132:135], a[166:167], a[6:7], v[132:135]// 00000000B038: D3F30084 1E120DA6
	v_mfma_f32_16x16x32_fp8_fp8 v[136:139], a[160:161], a[8:9], v[136:139]// 00000000B040: D3F30088 1E2211A0
	buffer_load_dwordx4 a[180:183], v90, s[84:87], 0 offen offset:1024// 00000000B048: E05C1400 8095B45A
	v_mfma_f32_16x16x32_fp8_fp8 v[136:139], a[162:163], a[10:11], v[136:139]// 00000000B050: D3F30088 1E2215A2
	v_mfma_f32_16x16x32_fp8_fp8 v[136:139], a[164:165], a[12:13], v[136:139]// 00000000B058: D3F30088 1E2219A4
	ds_read_b128 a[88:91], v2 offset:41728                     // 00000000B060: DBFEA300 58000002
	ds_read_b128 a[92:95], v2 offset:41792                     // 00000000B068: DBFEA340 5C000002
	v_mfma_f32_16x16x32_fp8_fp8 v[136:139], a[166:167], a[14:15], v[136:139]// 00000000B070: D3F30088 1E221DA6
	v_mfma_f32_16x16x32_fp8_fp8 v[140:143], a[160:161], a[16:17], v[140:143]// 00000000B078: D3F3008C 1E3221A0
	v_mfma_f32_16x16x32_fp8_fp8 v[140:143], a[162:163], a[18:19], v[140:143]// 00000000B080: D3F3008C 1E3225A2
	v_mfma_f32_16x16x32_fp8_fp8 v[140:143], a[164:165], a[20:21], v[140:143]// 00000000B088: D3F3008C 1E3229A4
	ds_read_b128 a[96:99], v2 offset:42240                     // 00000000B090: DBFEA500 60000002
	ds_read_b128 a[100:103], v2 offset:42304                   // 00000000B098: DBFEA540 64000002
	v_mfma_f32_16x16x32_fp8_fp8 v[140:143], a[166:167], a[22:23], v[140:143]// 00000000B0A0: D3F3008C 1E322DA6
	v_mfma_f32_16x16x32_fp8_fp8 v[144:147], a[160:161], a[24:25], v[144:147]// 00000000B0A8: D3F30090 1E4231A0
	v_mfma_f32_16x16x32_fp8_fp8 v[144:147], a[162:163], a[26:27], v[144:147]// 00000000B0B0: D3F30090 1E4235A2
	v_mfma_f32_16x16x32_fp8_fp8 v[144:147], a[164:165], a[28:29], v[144:147]// 00000000B0B8: D3F30090 1E4239A4
	ds_read_b128 a[104:107], v2 offset:42752                   // 00000000B0C0: DBFEA700 68000002
	ds_read_b128 a[108:111], v2 offset:42816                   // 00000000B0C8: DBFEA740 6C000002
	v_mfma_f32_16x16x32_fp8_fp8 v[144:147], a[166:167], a[30:31], v[144:147]// 00000000B0D0: D3F30090 1E423DA6
	v_mfma_f32_16x16x32_fp8_fp8 v[148:151], a[160:161], a[32:33], v[148:151]// 00000000B0D8: D3F30094 1E5241A0
	v_mfma_f32_16x16x32_fp8_fp8 v[148:151], a[162:163], a[34:35], v[148:151]// 00000000B0E0: D3F30094 1E5245A2
	v_mfma_f32_16x16x32_fp8_fp8 v[148:151], a[164:165], a[36:37], v[148:151]// 00000000B0E8: D3F30094 1E5249A4
	ds_read_b128 a[112:115], v2 offset:43264                   // 00000000B0F0: DBFEA900 70000002
	ds_read_b128 a[116:119], v2 offset:43328                   // 00000000B0F8: DBFEA940 74000002
	v_mfma_f32_16x16x32_fp8_fp8 v[148:151], a[166:167], a[38:39], v[148:151]// 00000000B100: D3F30094 1E524DA6
	v_mfma_f32_16x16x32_fp8_fp8 v[152:155], a[160:161], a[40:41], v[152:155]// 00000000B108: D3F30098 1E6251A0
	v_mfma_f32_16x16x32_fp8_fp8 v[152:155], a[162:163], a[42:43], v[152:155]// 00000000B110: D3F30098 1E6255A2
	v_mfma_f32_16x16x32_fp8_fp8 v[152:155], a[164:165], a[44:45], v[152:155]// 00000000B118: D3F30098 1E6259A4
	ds_read_b128 a[120:123], v2 offset:43776                   // 00000000B120: DBFEAB00 78000002
	ds_read_b128 a[124:127], v2 offset:43840                   // 00000000B128: DBFEAB40 7C000002
	v_mfma_f32_16x16x32_fp8_fp8 v[152:155], a[166:167], a[46:47], v[152:155]// 00000000B130: D3F30098 1E625DA6
	v_mfma_f32_16x16x32_fp8_fp8 v[156:159], a[160:161], a[48:49], v[156:159]// 00000000B138: D3F3009C 1E7261A0
	v_mfma_f32_16x16x32_fp8_fp8 v[156:159], a[162:163], a[50:51], v[156:159]// 00000000B140: D3F3009C 1E7265A2
	v_mfma_f32_16x16x32_fp8_fp8 v[156:159], a[164:165], a[52:53], v[156:159]// 00000000B148: D3F3009C 1E7269A4
	ds_read_b128 a[128:131], v2 offset:44288                   // 00000000B150: DBFEAD00 80000002
	ds_read_b128 a[132:135], v2 offset:44352                   // 00000000B158: DBFEAD40 84000002
	v_mfma_f32_16x16x32_fp8_fp8 v[156:159], a[166:167], a[54:55], v[156:159]// 00000000B160: D3F3009C 1E726DA6
	v_mfma_f32_16x16x32_fp8_fp8 v[160:163], a[160:161], a[56:57], v[160:163]// 00000000B168: D3F300A0 1E8271A0
	v_mfma_f32_16x16x32_fp8_fp8 v[160:163], a[162:163], a[58:59], v[160:163]// 00000000B170: D3F300A0 1E8275A2
	v_mfma_f32_16x16x32_fp8_fp8 v[160:163], a[164:165], a[60:61], v[160:163]// 00000000B178: D3F300A0 1E8279A4
	ds_read_b128 a[136:139], v2 offset:44800                   // 00000000B180: DBFEAF00 88000002
	ds_read_b128 a[140:143], v2 offset:44864                   // 00000000B188: DBFEAF40 8C000002
	v_mfma_f32_16x16x32_fp8_fp8 v[160:163], a[166:167], a[62:63], v[160:163]// 00000000B190: D3F300A0 1E827DA6
	v_mfma_f32_16x16x32_fp8_fp8 v[164:167], a[160:161], a[64:65], v[164:167]// 00000000B198: D3F300A4 1E9281A0
	s_add_u32 s60, 0x180, s80                                  // 00000000B1A0: 803C50FF 00000180
	s_cmp_lt_u32 s60, s81                                      // 00000000B1A8: BF0A513C
	s_cselect_b32 s57, s57, 0                                  // 00000000B1AC: 85398039
	v_mfma_f32_16x16x32_fp8_fp8 v[164:167], a[162:163], a[66:67], v[164:167]// 00000000B1B0: D3F300A4 1E9285A2
	s_add_u32 s60, 0x100, s80                                  // 00000000B1B8: 803C50FF 00000100
	s_cmp_lt_u32 s60, s81                                      // 00000000B1C0: BF0A513C
	s_cselect_b32 s58, s58, 0                                  // 00000000B1C4: 853A803A
	v_mfma_f32_16x16x32_fp8_fp8 v[164:167], a[164:165], a[68:69], v[164:167]// 00000000B1C8: D3F300A4 1E9289A4
	ds_read_b128 a[144:147], v2 offset:45312                   // 00000000B1D0: DBFEB100 90000002
	ds_read_b128 a[148:151], v2 offset:45376                   // 00000000B1D8: DBFEB140 94000002
	s_add_u32 s60, 0x100, s80                                  // 00000000B1E0: 803C50FF 00000100
	s_cmp_lt_u32 s60, s81                                      // 00000000B1E8: BF0A513C
	s_cselect_b32 s83, s83, 0                                  // 00000000B1EC: 85538053
	v_mfma_f32_16x16x32_fp8_fp8 v[164:167], a[166:167], a[70:71], v[164:167]// 00000000B1F0: D3F300A4 1E928DA6
	s_add_u32 s24, s58, s24                                    // 00000000B1F8: 8018183A
	s_addc_u32 s25, 0, s25                                     // 00000000B1FC: 82191980
	v_mfma_f32_16x16x32_fp8_fp8 v[168:171], a[160:161], a[72:73], v[168:171]// 00000000B200: D3F300A8 1EA291A0
	s_add_u32 s20, s57, s20                                    // 00000000B208: 80141439
	s_addc_u32 s21, 0, s21                                     // 00000000B20C: 82151580
	v_mfma_f32_16x16x32_fp8_fp8 v[168:171], a[162:163], a[74:75], v[168:171]// 00000000B210: D3F300A8 1EA295A2
	s_add_u32 s84, s83, s84                                    // 00000000B218: 80545453
	s_addc_u32 s85, 0, s85                                     // 00000000B21C: 82555580
	v_mfma_f32_16x16x32_fp8_fp8 v[168:171], a[164:165], a[76:77], v[168:171]// 00000000B220: D3F300A8 1EA299A4
	ds_read_b128 a[152:155], v2 offset:45824                   // 00000000B228: DBFEB300 98000002
	ds_read_b128 a[156:159], v2 offset:45888                   // 00000000B230: DBFEB340 9C000002
	v_mfma_f32_16x16x32_fp8_fp8 v[168:171], a[166:167], a[78:79], v[168:171]// 00000000B238: D3F300A8 1EA29DA6
	s_addk_i32 s80, 0x80                                       // 00000000B240: B7500080
	s_cmp_lt_i32 s80, s81                                      // 00000000B244: BF045150
	s_cbranch_scc0 label_234E                                  // 00000000B248: BF840138
	s_waitcnt vmcnt(22) lgkmcnt(0)                             // 00000000B24C: BF8C4076
	v_mfma_f32_16x16x32_fp8_fp8 v[92:95], a[168:169], a[80:81], v[92:95]// 00000000B250: D3F3005C 1D72A1A8
	buffer_load_dwordx4 a[160:163], v90, s[24:27], 0 offen     // 00000000B258: E05C1000 8086A05A
	v_mfma_f32_16x16x32_fp8_fp8 v[92:95], a[170:171], a[82:83], v[92:95]// 00000000B260: D3F3005C 1D72A5AA
	v_mfma_f32_16x16x32_fp8_fp8 v[92:95], a[172:173], a[84:85], v[92:95]// 00000000B268: D3F3005C 1D72A9AC
	v_mfma_f32_16x16x32_fp8_fp8 v[92:95], a[174:175], a[86:87], v[92:95]// 00000000B270: D3F3005C 1D72ADAE
	v_mfma_f32_16x16x32_fp8_fp8 v[96:99], a[168:169], a[88:89], v[96:99]// 00000000B278: D3F30060 1D82B1A8
	buffer_load_dwordx4 a[164:167], v90, s[24:27], 0 offen offset:1024// 00000000B280: E05C1400 8086A45A
	buffer_load_dword v70, s[20:23], 0 offen lds               // 00000000B288: E0511000 80050046
	s_add_u32 m0, 0x100, s49                                   // 00000000B290: 807C31FF 00000100
	v_mfma_f32_16x16x32_fp8_fp8 v[96:99], a[170:171], a[90:91], v[96:99]// 00000000B298: D3F30060 1D82B5AA
	v_mfma_f32_16x16x32_fp8_fp8 v[96:99], a[172:173], a[92:93], v[96:99]// 00000000B2A0: D3F30060 1D82B9AC
	buffer_load_dword v71, s[20:23], 0 offen lds               // 00000000B2A8: E0511000 80050047
	s_add_u32 m0, 0x200, s49                                   // 00000000B2B0: 807C31FF 00000200
	v_mfma_f32_16x16x32_fp8_fp8 v[96:99], a[174:175], a[94:95], v[96:99]// 00000000B2B8: D3F30060 1D82BDAE
	v_mfma_f32_16x16x32_fp8_fp8 v[100:103], a[168:169], a[96:97], v[100:103]// 00000000B2C0: D3F30064 1D92C1A8
	buffer_load_dword v72, s[20:23], 0 offen lds               // 00000000B2C8: E0511000 80050048
	s_add_u32 m0, 0x300, s49                                   // 00000000B2D0: 807C31FF 00000300
	v_mfma_f32_16x16x32_fp8_fp8 v[100:103], a[170:171], a[98:99], v[100:103]// 00000000B2D8: D3F30064 1D92C5AA
	v_mfma_f32_16x16x32_fp8_fp8 v[100:103], a[172:173], a[100:101], v[100:103]// 00000000B2E0: D3F30064 1D92C9AC
	buffer_load_dword v73, s[20:23], 0 offen lds               // 00000000B2E8: E0511000 80050049
	s_add_u32 m0, 0x400, s49                                   // 00000000B2F0: 807C31FF 00000400
	v_mfma_f32_16x16x32_fp8_fp8 v[100:103], a[174:175], a[102:103], v[100:103]// 00000000B2F8: D3F30064 1D92CDAE
	v_mfma_f32_16x16x32_fp8_fp8 v[104:107], a[168:169], a[104:105], v[104:107]// 00000000B300: D3F30068 1DA2D1A8
	buffer_load_dword v74, s[20:23], 0 offen lds               // 00000000B308: E0511000 8005004A
	s_add_u32 m0, 0x500, s49                                   // 00000000B310: 807C31FF 00000500
	v_mfma_f32_16x16x32_fp8_fp8 v[104:107], a[170:171], a[106:107], v[104:107]// 00000000B318: D3F30068 1DA2D5AA
	v_mfma_f32_16x16x32_fp8_fp8 v[104:107], a[172:173], a[108:109], v[104:107]// 00000000B320: D3F30068 1DA2D9AC
	buffer_load_dword v75, s[20:23], 0 offen lds               // 00000000B328: E0511000 8005004B
	s_add_u32 m0, 0x600, s49                                   // 00000000B330: 807C31FF 00000600
	v_mfma_f32_16x16x32_fp8_fp8 v[104:107], a[174:175], a[110:111], v[104:107]// 00000000B338: D3F30068 1DA2DDAE
	v_mfma_f32_16x16x32_fp8_fp8 v[108:111], a[168:169], a[112:113], v[108:111]// 00000000B340: D3F3006C 1DB2E1A8
	buffer_load_dword v76, s[20:23], 0 offen lds               // 00000000B348: E0511000 8005004C
	s_add_u32 m0, 0x700, s49                                   // 00000000B350: 807C31FF 00000700
	v_mfma_f32_16x16x32_fp8_fp8 v[108:111], a[170:171], a[114:115], v[108:111]// 00000000B358: D3F3006C 1DB2E5AA
	v_mfma_f32_16x16x32_fp8_fp8 v[108:111], a[172:173], a[116:117], v[108:111]// 00000000B360: D3F3006C 1DB2E9AC
	buffer_load_dword v77, s[20:23], 0 offen lds               // 00000000B368: E0511000 8005004D
	s_add_u32 m0, 0x800, s49                                   // 00000000B370: 807C31FF 00000800
	v_mfma_f32_16x16x32_fp8_fp8 v[108:111], a[174:175], a[118:119], v[108:111]// 00000000B378: D3F3006C 1DB2EDAE
	v_mfma_f32_16x16x32_fp8_fp8 v[112:115], a[168:169], a[120:121], v[112:115]// 00000000B380: D3F30070 1DC2F1A8
	buffer_load_dword v78, s[20:23], 0 offen lds               // 00000000B388: E0511000 8005004E
	s_add_u32 m0, 0x900, s49                                   // 00000000B390: 807C31FF 00000900
	v_mfma_f32_16x16x32_fp8_fp8 v[112:115], a[170:171], a[122:123], v[112:115]// 00000000B398: D3F30070 1DC2F5AA
	v_mfma_f32_16x16x32_fp8_fp8 v[112:115], a[172:173], a[124:125], v[112:115]// 00000000B3A0: D3F30070 1DC2F9AC
	buffer_load_dword v79, s[20:23], 0 offen lds               // 00000000B3A8: E0511000 8005004F
	s_add_u32 m0, 0xa00, s49                                   // 00000000B3B0: 807C31FF 00000A00
	v_mfma_f32_16x16x32_fp8_fp8 v[112:115], a[174:175], a[126:127], v[112:115]// 00000000B3B8: D3F30070 1DC2FDAE
	v_mfma_f32_16x16x32_fp8_fp8 v[116:119], a[168:169], a[128:129], v[116:119]// 00000000B3C0: D3F30074 1DD301A8
	buffer_load_dword v80, s[20:23], 0 offen lds               // 00000000B3C8: E0511000 80050050
	s_add_u32 m0, 0xb00, s49                                   // 00000000B3D0: 807C31FF 00000B00
	v_mfma_f32_16x16x32_fp8_fp8 v[116:119], a[170:171], a[130:131], v[116:119]// 00000000B3D8: D3F30074 1DD305AA
	v_mfma_f32_16x16x32_fp8_fp8 v[116:119], a[172:173], a[132:133], v[116:119]// 00000000B3E0: D3F30074 1DD309AC
	buffer_load_dword v81, s[20:23], 0 offen lds               // 00000000B3E8: E0511000 80050051
	s_add_u32 m0, 0xc00, s49                                   // 00000000B3F0: 807C31FF 00000C00
	v_mfma_f32_16x16x32_fp8_fp8 v[116:119], a[174:175], a[134:135], v[116:119]// 00000000B3F8: D3F30074 1DD30DAE
	v_mfma_f32_16x16x32_fp8_fp8 v[120:123], a[168:169], a[136:137], v[120:123]// 00000000B400: D3F30078 1DE311A8
	buffer_load_dword v82, s[20:23], 0 offen lds               // 00000000B408: E0511000 80050052
	s_add_u32 m0, 0xd00, s49                                   // 00000000B410: 807C31FF 00000D00
	v_mfma_f32_16x16x32_fp8_fp8 v[120:123], a[170:171], a[138:139], v[120:123]// 00000000B418: D3F30078 1DE315AA
	v_mfma_f32_16x16x32_fp8_fp8 v[120:123], a[172:173], a[140:141], v[120:123]// 00000000B420: D3F30078 1DE319AC
	buffer_load_dword v83, s[20:23], 0 offen lds               // 00000000B428: E0511000 80050053
	s_add_u32 m0, 0xe00, s49                                   // 00000000B430: 807C31FF 00000E00
	v_mfma_f32_16x16x32_fp8_fp8 v[120:123], a[174:175], a[142:143], v[120:123]// 00000000B438: D3F30078 1DE31DAE
	v_mfma_f32_16x16x32_fp8_fp8 v[124:127], a[168:169], a[144:145], v[124:127]// 00000000B440: D3F3007C 1DF321A8
	buffer_load_dword v84, s[20:23], 0 offen lds               // 00000000B448: E0511000 80050054
	s_add_u32 m0, 0xf00, s49                                   // 00000000B450: 807C31FF 00000F00
	v_mfma_f32_16x16x32_fp8_fp8 v[124:127], a[170:171], a[146:147], v[124:127]// 00000000B458: D3F3007C 1DF325AA
	v_mfma_f32_16x16x32_fp8_fp8 v[124:127], a[172:173], a[148:149], v[124:127]// 00000000B460: D3F3007C 1DF329AC
	buffer_load_dword v85, s[20:23], 0 offen lds               // 00000000B468: E0511000 80050055
	s_add_u32 m0, 0x1000, s49                                  // 00000000B470: 807C31FF 00001000
	v_mfma_f32_16x16x32_fp8_fp8 v[124:127], a[174:175], a[150:151], v[124:127]// 00000000B478: D3F3007C 1DF32DAE
	v_mfma_f32_16x16x32_fp8_fp8 v[128:131], a[168:169], a[152:153], v[128:131]// 00000000B480: D3F30080 1E0331A8
	buffer_load_dword v86, s[20:23], 0 offen lds               // 00000000B488: E0511000 80050056
	s_add_u32 m0, 0x1100, s49                                  // 00000000B490: 807C31FF 00001100
	v_mfma_f32_16x16x32_fp8_fp8 v[128:131], a[170:171], a[154:155], v[128:131]// 00000000B498: D3F30080 1E0335AA
	v_mfma_f32_16x16x32_fp8_fp8 v[128:131], a[172:173], a[156:157], v[128:131]// 00000000B4A0: D3F30080 1E0339AC
	buffer_load_dword v87, s[20:23], 0 offen lds               // 00000000B4A8: E0511000 80050057
	s_add_u32 m0, 0x1200, s49                                  // 00000000B4B0: 807C31FF 00001200
	v_mfma_f32_16x16x32_fp8_fp8 v[128:131], a[174:175], a[158:159], v[128:131]// 00000000B4B8: D3F30080 1E033DAE
	buffer_load_dword v88, s[20:23], 0 offen lds               // 00000000B4C0: E0511000 80050058
	s_add_u32 m0, 0x1300, s49                                  // 00000000B4C8: 807C31FF 00001300
	buffer_load_dword v89, s[20:23], 0 offen lds               // 00000000B4D0: E0511000 80050059
	s_add_u32 m0, 0, s50                                       // 00000000B4D8: 807C3280
	s_waitcnt vmcnt(22)                                        // 00000000B4DC: BF8C4F76
	s_barrier                                                  // 00000000B4E0: BF8A0000
	v_mfma_f32_16x16x32_fp8_fp8 v[132:135], a[176:177], a[80:81], v[132:135]// 00000000B4E4: D3F30084 1E12A1B0
	buffer_load_dwordx4 a[168:171], v90, s[84:87], 0 offen     // 00000000B4EC: E05C1000 8095A85A
	v_mfma_f32_16x16x32_fp8_fp8 v[132:135], a[178:179], a[82:83], v[132:135]// 00000000B4F4: D3F30084 1E12A5B2
	v_mfma_f32_16x16x32_fp8_fp8 v[132:135], a[180:181], a[84:85], v[132:135]// 00000000B4FC: D3F30084 1E12A9B4
	ds_read_b128 a[0:3], v2                                    // 00000000B504: DBFE0000 00000002
	ds_read_b128 a[4:7], v2 offset:64                          // 00000000B50C: DBFE0040 04000002
	v_mfma_f32_16x16x32_fp8_fp8 v[132:135], a[182:183], a[86:87], v[132:135]// 00000000B514: D3F30084 1E12ADB6
	v_mfma_f32_16x16x32_fp8_fp8 v[136:139], a[176:177], a[88:89], v[136:139]// 00000000B51C: D3F30088 1E22B1B0
	buffer_load_dwordx4 a[172:175], v90, s[84:87], 0 offen offset:1024// 00000000B524: E05C1400 8095AC5A
	v_mfma_f32_16x16x32_fp8_fp8 v[136:139], a[178:179], a[90:91], v[136:139]// 00000000B52C: D3F30088 1E22B5B2
	v_mfma_f32_16x16x32_fp8_fp8 v[136:139], a[180:181], a[92:93], v[136:139]// 00000000B534: D3F30088 1E22B9B4
	ds_read_b128 a[8:11], v2 offset:512                        // 00000000B53C: DBFE0200 08000002
	ds_read_b128 a[12:15], v2 offset:576                       // 00000000B544: DBFE0240 0C000002
	v_mfma_f32_16x16x32_fp8_fp8 v[136:139], a[182:183], a[94:95], v[136:139]// 00000000B54C: D3F30088 1E22BDB6
	v_mfma_f32_16x16x32_fp8_fp8 v[140:143], a[176:177], a[96:97], v[140:143]// 00000000B554: D3F3008C 1E32C1B0
	v_mfma_f32_16x16x32_fp8_fp8 v[140:143], a[178:179], a[98:99], v[140:143]// 00000000B55C: D3F3008C 1E32C5B2
	v_mfma_f32_16x16x32_fp8_fp8 v[140:143], a[180:181], a[100:101], v[140:143]// 00000000B564: D3F3008C 1E32C9B4
	ds_read_b128 a[16:19], v2 offset:1024                      // 00000000B56C: DBFE0400 10000002
	ds_read_b128 a[20:23], v2 offset:1088                      // 00000000B574: DBFE0440 14000002
	v_mfma_f32_16x16x32_fp8_fp8 v[140:143], a[182:183], a[102:103], v[140:143]// 00000000B57C: D3F3008C 1E32CDB6
	v_mfma_f32_16x16x32_fp8_fp8 v[144:147], a[176:177], a[104:105], v[144:147]// 00000000B584: D3F30090 1E42D1B0
	v_mfma_f32_16x16x32_fp8_fp8 v[144:147], a[178:179], a[106:107], v[144:147]// 00000000B58C: D3F30090 1E42D5B2
	v_mfma_f32_16x16x32_fp8_fp8 v[144:147], a[180:181], a[108:109], v[144:147]// 00000000B594: D3F30090 1E42D9B4
	ds_read_b128 a[24:27], v2 offset:1536                      // 00000000B59C: DBFE0600 18000002
	ds_read_b128 a[28:31], v2 offset:1600                      // 00000000B5A4: DBFE0640 1C000002
	v_mfma_f32_16x16x32_fp8_fp8 v[144:147], a[182:183], a[110:111], v[144:147]// 00000000B5AC: D3F30090 1E42DDB6
	v_mfma_f32_16x16x32_fp8_fp8 v[148:151], a[176:177], a[112:113], v[148:151]// 00000000B5B4: D3F30094 1E52E1B0
	v_mfma_f32_16x16x32_fp8_fp8 v[148:151], a[178:179], a[114:115], v[148:151]// 00000000B5BC: D3F30094 1E52E5B2
	v_mfma_f32_16x16x32_fp8_fp8 v[148:151], a[180:181], a[116:117], v[148:151]// 00000000B5C4: D3F30094 1E52E9B4
	ds_read_b128 a[32:35], v2 offset:2048                      // 00000000B5CC: DBFE0800 20000002
	ds_read_b128 a[36:39], v2 offset:2112                      // 00000000B5D4: DBFE0840 24000002
	v_mfma_f32_16x16x32_fp8_fp8 v[148:151], a[182:183], a[118:119], v[148:151]// 00000000B5DC: D3F30094 1E52EDB6
	v_mfma_f32_16x16x32_fp8_fp8 v[152:155], a[176:177], a[120:121], v[152:155]// 00000000B5E4: D3F30098 1E62F1B0
	v_mfma_f32_16x16x32_fp8_fp8 v[152:155], a[178:179], a[122:123], v[152:155]// 00000000B5EC: D3F30098 1E62F5B2
	v_mfma_f32_16x16x32_fp8_fp8 v[152:155], a[180:181], a[124:125], v[152:155]// 00000000B5F4: D3F30098 1E62F9B4
	ds_read_b128 a[40:43], v2 offset:2560                      // 00000000B5FC: DBFE0A00 28000002
	ds_read_b128 a[44:47], v2 offset:2624                      // 00000000B604: DBFE0A40 2C000002
	v_mfma_f32_16x16x32_fp8_fp8 v[152:155], a[182:183], a[126:127], v[152:155]// 00000000B60C: D3F30098 1E62FDB6
	v_mfma_f32_16x16x32_fp8_fp8 v[156:159], a[176:177], a[128:129], v[156:159]// 00000000B614: D3F3009C 1E7301B0
	v_mfma_f32_16x16x32_fp8_fp8 v[156:159], a[178:179], a[130:131], v[156:159]// 00000000B61C: D3F3009C 1E7305B2
	v_mfma_f32_16x16x32_fp8_fp8 v[156:159], a[180:181], a[132:133], v[156:159]// 00000000B624: D3F3009C 1E7309B4
	ds_read_b128 a[48:51], v2 offset:3072                      // 00000000B62C: DBFE0C00 30000002
	ds_read_b128 a[52:55], v2 offset:3136                      // 00000000B634: DBFE0C40 34000002
	v_mfma_f32_16x16x32_fp8_fp8 v[156:159], a[182:183], a[134:135], v[156:159]// 00000000B63C: D3F3009C 1E730DB6
	v_mfma_f32_16x16x32_fp8_fp8 v[160:163], a[176:177], a[136:137], v[160:163]// 00000000B644: D3F300A0 1E8311B0
	v_mfma_f32_16x16x32_fp8_fp8 v[160:163], a[178:179], a[138:139], v[160:163]// 00000000B64C: D3F300A0 1E8315B2
	v_mfma_f32_16x16x32_fp8_fp8 v[160:163], a[180:181], a[140:141], v[160:163]// 00000000B654: D3F300A0 1E8319B4
	ds_read_b128 a[56:59], v2 offset:3584                      // 00000000B65C: DBFE0E00 38000002
	ds_read_b128 a[60:63], v2 offset:3648                      // 00000000B664: DBFE0E40 3C000002
	v_mfma_f32_16x16x32_fp8_fp8 v[160:163], a[182:183], a[142:143], v[160:163]// 00000000B66C: D3F300A0 1E831DB6
	v_mfma_f32_16x16x32_fp8_fp8 v[164:167], a[176:177], a[144:145], v[164:167]// 00000000B674: D3F300A4 1E9321B0
	s_add_u32 s60, 0x180, s80                                  // 00000000B67C: 803C50FF 00000180
	s_cmp_lt_u32 s60, s81                                      // 00000000B684: BF0A513C
	s_cselect_b32 s57, s57, 0                                  // 00000000B688: 85398039
	v_mfma_f32_16x16x32_fp8_fp8 v[164:167], a[178:179], a[146:147], v[164:167]// 00000000B68C: D3F300A4 1E9325B2
	s_add_u32 s60, 0x100, s80                                  // 00000000B694: 803C50FF 00000100
	s_cmp_lt_u32 s60, s81                                      // 00000000B69C: BF0A513C
	s_cselect_b32 s58, s58, 0                                  // 00000000B6A0: 853A803A
	v_mfma_f32_16x16x32_fp8_fp8 v[164:167], a[180:181], a[148:149], v[164:167]// 00000000B6A4: D3F300A4 1E9329B4
	ds_read_b128 a[64:67], v2 offset:4096                      // 00000000B6AC: DBFE1000 40000002
	ds_read_b128 a[68:71], v2 offset:4160                      // 00000000B6B4: DBFE1040 44000002
	s_add_u32 s60, 0x100, s80                                  // 00000000B6BC: 803C50FF 00000100
	s_cmp_lt_u32 s60, s81                                      // 00000000B6C4: BF0A513C
	s_cselect_b32 s83, s83, 0                                  // 00000000B6C8: 85538053
	v_mfma_f32_16x16x32_fp8_fp8 v[164:167], a[182:183], a[150:151], v[164:167]// 00000000B6CC: D3F300A4 1E932DB6
	s_add_u32 s24, s58, s24                                    // 00000000B6D4: 8018183A
	s_addc_u32 s25, 0, s25                                     // 00000000B6D8: 82191980
	v_mfma_f32_16x16x32_fp8_fp8 v[168:171], a[176:177], a[152:153], v[168:171]// 00000000B6DC: D3F300A8 1EA331B0
	s_add_u32 s20, s57, s20                                    // 00000000B6E4: 80141439
	s_addc_u32 s21, 0, s21                                     // 00000000B6E8: 82151580
	v_mfma_f32_16x16x32_fp8_fp8 v[168:171], a[178:179], a[154:155], v[168:171]// 00000000B6EC: D3F300A8 1EA335B2
	s_add_u32 s84, s83, s84                                    // 00000000B6F4: 80545453
	s_addc_u32 s85, 0, s85                                     // 00000000B6F8: 82555580
	v_mfma_f32_16x16x32_fp8_fp8 v[168:171], a[180:181], a[156:157], v[168:171]// 00000000B6FC: D3F300A8 1EA339B4
	ds_read_b128 a[72:75], v2 offset:4608                      // 00000000B704: DBFE1200 48000002
	ds_read_b128 a[76:79], v2 offset:4672                      // 00000000B70C: DBFE1240 4C000002
	v_mfma_f32_16x16x32_fp8_fp8 v[168:171], a[182:183], a[158:159], v[168:171]// 00000000B714: D3F300A8 1EA33DB6
	s_addk_i32 s80, 0x80                                       // 00000000B71C: B7500080
	s_cmp_lt_i32 s80, s81                                      // 00000000B720: BF045150
	s_cbranch_scc0 label_234E                                  // 00000000B724: BF840001
	s_branch label_1C03                                        // 00000000B728: BF82F8B5

000000000000b72c <label_234E>:
	v_mul_f32_dpp v92, v24, v92 row_newbcast:0 row_mask:0xf bank_mask:0xf// 00000000B72C: 0AB8B8FA FF015018
	v_mul_f32_dpp v93, v24, v93 row_newbcast:1 row_mask:0xf bank_mask:0xf// 00000000B734: 0ABABAFA FF015118
	v_mul_f32_dpp v94, v24, v94 row_newbcast:2 row_mask:0xf bank_mask:0xf// 00000000B73C: 0ABCBCFA FF015218
	v_mul_f32_dpp v95, v24, v95 row_newbcast:3 row_mask:0xf bank_mask:0xf// 00000000B744: 0ABEBEFA FF015318
	v_mul_f32_dpp v96, v24, v96 row_newbcast:0 row_mask:0xf bank_mask:0xf// 00000000B74C: 0AC0C0FA FF015018
	v_mul_f32_dpp v97, v24, v97 row_newbcast:1 row_mask:0xf bank_mask:0xf// 00000000B754: 0AC2C2FA FF015118
	v_mul_f32_dpp v98, v24, v98 row_newbcast:2 row_mask:0xf bank_mask:0xf// 00000000B75C: 0AC4C4FA FF015218
	v_mul_f32_dpp v99, v24, v99 row_newbcast:3 row_mask:0xf bank_mask:0xf// 00000000B764: 0AC6C6FA FF015318
	v_mul_f32_dpp v100, v24, v100 row_newbcast:0 row_mask:0xf bank_mask:0xf// 00000000B76C: 0AC8C8FA FF015018
	v_mul_f32_dpp v101, v24, v101 row_newbcast:1 row_mask:0xf bank_mask:0xf// 00000000B774: 0ACACAFA FF015118
	v_mul_f32_dpp v102, v24, v102 row_newbcast:2 row_mask:0xf bank_mask:0xf// 00000000B77C: 0ACCCCFA FF015218
	v_mul_f32_dpp v103, v24, v103 row_newbcast:3 row_mask:0xf bank_mask:0xf// 00000000B784: 0ACECEFA FF015318
	v_mul_f32_dpp v104, v24, v104 row_newbcast:0 row_mask:0xf bank_mask:0xf// 00000000B78C: 0AD0D0FA FF015018
	v_mul_f32_dpp v105, v24, v105 row_newbcast:1 row_mask:0xf bank_mask:0xf// 00000000B794: 0AD2D2FA FF015118
	v_mul_f32_dpp v106, v24, v106 row_newbcast:2 row_mask:0xf bank_mask:0xf// 00000000B79C: 0AD4D4FA FF015218
	v_mul_f32_dpp v107, v24, v107 row_newbcast:3 row_mask:0xf bank_mask:0xf// 00000000B7A4: 0AD6D6FA FF015318
	v_mul_f32_dpp v108, v24, v108 row_newbcast:0 row_mask:0xf bank_mask:0xf// 00000000B7AC: 0AD8D8FA FF015018
	v_mul_f32_dpp v109, v24, v109 row_newbcast:1 row_mask:0xf bank_mask:0xf// 00000000B7B4: 0ADADAFA FF015118
	v_mul_f32_dpp v110, v24, v110 row_newbcast:2 row_mask:0xf bank_mask:0xf// 00000000B7BC: 0ADCDCFA FF015218
	v_mul_f32_dpp v111, v24, v111 row_newbcast:3 row_mask:0xf bank_mask:0xf// 00000000B7C4: 0ADEDEFA FF015318
	v_mul_f32_dpp v112, v24, v112 row_newbcast:0 row_mask:0xf bank_mask:0xf// 00000000B7CC: 0AE0E0FA FF015018
	v_mul_f32_dpp v113, v24, v113 row_newbcast:1 row_mask:0xf bank_mask:0xf// 00000000B7D4: 0AE2E2FA FF015118
	v_mul_f32_dpp v114, v24, v114 row_newbcast:2 row_mask:0xf bank_mask:0xf// 00000000B7DC: 0AE4E4FA FF015218
	v_mul_f32_dpp v115, v24, v115 row_newbcast:3 row_mask:0xf bank_mask:0xf// 00000000B7E4: 0AE6E6FA FF015318
	v_mul_f32_dpp v116, v24, v116 row_newbcast:0 row_mask:0xf bank_mask:0xf// 00000000B7EC: 0AE8E8FA FF015018
	v_mul_f32_dpp v117, v24, v117 row_newbcast:1 row_mask:0xf bank_mask:0xf// 00000000B7F4: 0AEAEAFA FF015118
	v_mul_f32_dpp v118, v24, v118 row_newbcast:2 row_mask:0xf bank_mask:0xf// 00000000B7FC: 0AECECFA FF015218
	v_mul_f32_dpp v119, v24, v119 row_newbcast:3 row_mask:0xf bank_mask:0xf// 00000000B804: 0AEEEEFA FF015318
	v_mul_f32_dpp v120, v24, v120 row_newbcast:0 row_mask:0xf bank_mask:0xf// 00000000B80C: 0AF0F0FA FF015018
	v_mul_f32_dpp v121, v24, v121 row_newbcast:1 row_mask:0xf bank_mask:0xf// 00000000B814: 0AF2F2FA FF015118
	v_mul_f32_dpp v122, v24, v122 row_newbcast:2 row_mask:0xf bank_mask:0xf// 00000000B81C: 0AF4F4FA FF015218
	v_mul_f32_dpp v123, v24, v123 row_newbcast:3 row_mask:0xf bank_mask:0xf// 00000000B824: 0AF6F6FA FF015318
	v_mul_f32_dpp v124, v24, v124 row_newbcast:0 row_mask:0xf bank_mask:0xf// 00000000B82C: 0AF8F8FA FF015018
	v_mul_f32_dpp v125, v24, v125 row_newbcast:1 row_mask:0xf bank_mask:0xf// 00000000B834: 0AFAFAFA FF015118
	v_mul_f32_dpp v126, v24, v126 row_newbcast:2 row_mask:0xf bank_mask:0xf// 00000000B83C: 0AFCFCFA FF015218
	v_mul_f32_dpp v127, v24, v127 row_newbcast:3 row_mask:0xf bank_mask:0xf// 00000000B844: 0AFEFEFA FF015318
	v_mul_f32_dpp v128, v24, v128 row_newbcast:0 row_mask:0xf bank_mask:0xf// 00000000B84C: 0B0100FA FF015018
	v_mul_f32_dpp v129, v24, v129 row_newbcast:1 row_mask:0xf bank_mask:0xf// 00000000B854: 0B0302FA FF015118
	v_mul_f32_dpp v130, v24, v130 row_newbcast:2 row_mask:0xf bank_mask:0xf// 00000000B85C: 0B0504FA FF015218
	v_mul_f32_dpp v131, v24, v131 row_newbcast:3 row_mask:0xf bank_mask:0xf// 00000000B864: 0B0706FA FF015318
	v_mul_f32_dpp v132, v27, v132 row_newbcast:0 row_mask:0xf bank_mask:0xf// 00000000B86C: 0B0908FA FF01501B
	v_mul_f32_dpp v133, v27, v133 row_newbcast:1 row_mask:0xf bank_mask:0xf// 00000000B874: 0B0B0AFA FF01511B
	v_mul_f32_dpp v134, v27, v134 row_newbcast:2 row_mask:0xf bank_mask:0xf// 00000000B87C: 0B0D0CFA FF01521B
	v_mul_f32_dpp v135, v27, v135 row_newbcast:3 row_mask:0xf bank_mask:0xf// 00000000B884: 0B0F0EFA FF01531B
	v_mul_f32_dpp v136, v27, v136 row_newbcast:0 row_mask:0xf bank_mask:0xf// 00000000B88C: 0B1110FA FF01501B
	v_mul_f32_dpp v137, v27, v137 row_newbcast:1 row_mask:0xf bank_mask:0xf// 00000000B894: 0B1312FA FF01511B
	v_mul_f32_dpp v138, v27, v138 row_newbcast:2 row_mask:0xf bank_mask:0xf// 00000000B89C: 0B1514FA FF01521B
	v_mul_f32_dpp v139, v27, v139 row_newbcast:3 row_mask:0xf bank_mask:0xf// 00000000B8A4: 0B1716FA FF01531B
	v_mul_f32_dpp v140, v27, v140 row_newbcast:0 row_mask:0xf bank_mask:0xf// 00000000B8AC: 0B1918FA FF01501B
	v_mul_f32_dpp v141, v27, v141 row_newbcast:1 row_mask:0xf bank_mask:0xf// 00000000B8B4: 0B1B1AFA FF01511B
	v_mul_f32_dpp v142, v27, v142 row_newbcast:2 row_mask:0xf bank_mask:0xf// 00000000B8BC: 0B1D1CFA FF01521B
	v_mul_f32_dpp v143, v27, v143 row_newbcast:3 row_mask:0xf bank_mask:0xf// 00000000B8C4: 0B1F1EFA FF01531B
	v_mul_f32_dpp v144, v27, v144 row_newbcast:0 row_mask:0xf bank_mask:0xf// 00000000B8CC: 0B2120FA FF01501B
	v_mul_f32_dpp v145, v27, v145 row_newbcast:1 row_mask:0xf bank_mask:0xf// 00000000B8D4: 0B2322FA FF01511B
	v_mul_f32_dpp v146, v27, v146 row_newbcast:2 row_mask:0xf bank_mask:0xf// 00000000B8DC: 0B2524FA FF01521B
	v_mul_f32_dpp v147, v27, v147 row_newbcast:3 row_mask:0xf bank_mask:0xf// 00000000B8E4: 0B2726FA FF01531B
	v_mul_f32_dpp v148, v27, v148 row_newbcast:0 row_mask:0xf bank_mask:0xf// 00000000B8EC: 0B2928FA FF01501B
	v_mul_f32_dpp v149, v27, v149 row_newbcast:1 row_mask:0xf bank_mask:0xf// 00000000B8F4: 0B2B2AFA FF01511B
	v_mul_f32_dpp v150, v27, v150 row_newbcast:2 row_mask:0xf bank_mask:0xf// 00000000B8FC: 0B2D2CFA FF01521B
	v_mul_f32_dpp v151, v27, v151 row_newbcast:3 row_mask:0xf bank_mask:0xf// 00000000B904: 0B2F2EFA FF01531B
	v_mul_f32_dpp v152, v27, v152 row_newbcast:0 row_mask:0xf bank_mask:0xf// 00000000B90C: 0B3130FA FF01501B
	v_mul_f32_dpp v153, v27, v153 row_newbcast:1 row_mask:0xf bank_mask:0xf// 00000000B914: 0B3332FA FF01511B
	v_mul_f32_dpp v154, v27, v154 row_newbcast:2 row_mask:0xf bank_mask:0xf// 00000000B91C: 0B3534FA FF01521B
	v_mul_f32_dpp v155, v27, v155 row_newbcast:3 row_mask:0xf bank_mask:0xf// 00000000B924: 0B3736FA FF01531B
	v_mul_f32_dpp v156, v27, v156 row_newbcast:0 row_mask:0xf bank_mask:0xf// 00000000B92C: 0B3938FA FF01501B
	v_mul_f32_dpp v157, v27, v157 row_newbcast:1 row_mask:0xf bank_mask:0xf// 00000000B934: 0B3B3AFA FF01511B
	v_mul_f32_dpp v158, v27, v158 row_newbcast:2 row_mask:0xf bank_mask:0xf// 00000000B93C: 0B3D3CFA FF01521B
	v_mul_f32_dpp v159, v27, v159 row_newbcast:3 row_mask:0xf bank_mask:0xf// 00000000B944: 0B3F3EFA FF01531B
	v_mul_f32_dpp v160, v27, v160 row_newbcast:0 row_mask:0xf bank_mask:0xf// 00000000B94C: 0B4140FA FF01501B
	v_mul_f32_dpp v161, v27, v161 row_newbcast:1 row_mask:0xf bank_mask:0xf// 00000000B954: 0B4342FA FF01511B
	v_mul_f32_dpp v162, v27, v162 row_newbcast:2 row_mask:0xf bank_mask:0xf// 00000000B95C: 0B4544FA FF01521B
	v_mul_f32_dpp v163, v27, v163 row_newbcast:3 row_mask:0xf bank_mask:0xf// 00000000B964: 0B4746FA FF01531B
	v_mul_f32_dpp v164, v27, v164 row_newbcast:0 row_mask:0xf bank_mask:0xf// 00000000B96C: 0B4948FA FF01501B
	v_mul_f32_dpp v165, v27, v165 row_newbcast:1 row_mask:0xf bank_mask:0xf// 00000000B974: 0B4B4AFA FF01511B
	v_mul_f32_dpp v166, v27, v166 row_newbcast:2 row_mask:0xf bank_mask:0xf// 00000000B97C: 0B4D4CFA FF01521B
	v_mul_f32_dpp v167, v27, v167 row_newbcast:3 row_mask:0xf bank_mask:0xf// 00000000B984: 0B4F4EFA FF01531B
	v_mul_f32_dpp v168, v27, v168 row_newbcast:0 row_mask:0xf bank_mask:0xf// 00000000B98C: 0B5150FA FF01501B
	v_mul_f32_dpp v169, v27, v169 row_newbcast:1 row_mask:0xf bank_mask:0xf// 00000000B994: 0B5352FA FF01511B
	v_mul_f32_dpp v170, v27, v170 row_newbcast:2 row_mask:0xf bank_mask:0xf// 00000000B99C: 0B5554FA FF01521B
	v_mul_f32_dpp v171, v27, v171 row_newbcast:3 row_mask:0xf bank_mask:0xf// 00000000B9A4: 0B5756FA FF01531B
	v_mov_b32_e32 v4, v40                                      // 00000000B9AC: 7E080328
	v_mov_b32_e32 v5, v4                                       // 00000000B9B0: 7E0A0304
	v_pk_mul_f32 v[92:93], v[4:5], v[92:93]                    // 00000000B9B4: D3B1405C 1802B904
	v_pk_mul_f32 v[132:133], v[4:5], v[132:133]                // 00000000B9BC: D3B14084 18030904
	v_pk_mul_f32 v[94:95], v[4:5], v[94:95]                    // 00000000B9C4: D3B1405E 1802BD04
	v_pk_mul_f32 v[134:135], v[4:5], v[134:135]                // 00000000B9CC: D3B14086 18030D04
	v_mov_b32_e32 v4, v41                                      // 00000000B9D4: 7E080329
	v_mov_b32_e32 v5, v4                                       // 00000000B9D8: 7E0A0304
	v_pk_mul_f32 v[96:97], v[4:5], v[96:97]                    // 00000000B9DC: D3B14060 1802C104
	v_pk_mul_f32 v[136:137], v[4:5], v[136:137]                // 00000000B9E4: D3B14088 18031104
	v_pk_mul_f32 v[98:99], v[4:5], v[98:99]                    // 00000000B9EC: D3B14062 1802C504
	v_pk_mul_f32 v[138:139], v[4:5], v[138:139]                // 00000000B9F4: D3B1408A 18031504
	v_mov_b32_e32 v4, v42                                      // 00000000B9FC: 7E08032A
	v_mov_b32_e32 v5, v4                                       // 00000000BA00: 7E0A0304
	v_pk_mul_f32 v[100:101], v[4:5], v[100:101]                // 00000000BA04: D3B14064 1802C904
	v_pk_mul_f32 v[140:141], v[4:5], v[140:141]                // 00000000BA0C: D3B1408C 18031904
	v_pk_mul_f32 v[102:103], v[4:5], v[102:103]                // 00000000BA14: D3B14066 1802CD04
	v_pk_mul_f32 v[142:143], v[4:5], v[142:143]                // 00000000BA1C: D3B1408E 18031D04
	v_mov_b32_e32 v4, v43                                      // 00000000BA24: 7E08032B
	v_mov_b32_e32 v5, v4                                       // 00000000BA28: 7E0A0304
	v_pk_mul_f32 v[104:105], v[4:5], v[104:105]                // 00000000BA2C: D3B14068 1802D104
	v_pk_mul_f32 v[144:145], v[4:5], v[144:145]                // 00000000BA34: D3B14090 18032104
	v_pk_mul_f32 v[106:107], v[4:5], v[106:107]                // 00000000BA3C: D3B1406A 1802D504
	v_pk_mul_f32 v[146:147], v[4:5], v[146:147]                // 00000000BA44: D3B14092 18032504
	v_mov_b32_e32 v4, v44                                      // 00000000BA4C: 7E08032C
	v_mov_b32_e32 v5, v4                                       // 00000000BA50: 7E0A0304
	v_pk_mul_f32 v[108:109], v[4:5], v[108:109]                // 00000000BA54: D3B1406C 1802D904
	v_pk_mul_f32 v[148:149], v[4:5], v[148:149]                // 00000000BA5C: D3B14094 18032904
	v_pk_mul_f32 v[110:111], v[4:5], v[110:111]                // 00000000BA64: D3B1406E 1802DD04
	v_pk_mul_f32 v[150:151], v[4:5], v[150:151]                // 00000000BA6C: D3B14096 18032D04
	v_mov_b32_e32 v4, v45                                      // 00000000BA74: 7E08032D
	v_mov_b32_e32 v5, v4                                       // 00000000BA78: 7E0A0304
	v_pk_mul_f32 v[112:113], v[4:5], v[112:113]                // 00000000BA7C: D3B14070 1802E104
	v_pk_mul_f32 v[152:153], v[4:5], v[152:153]                // 00000000BA84: D3B14098 18033104
	v_pk_mul_f32 v[114:115], v[4:5], v[114:115]                // 00000000BA8C: D3B14072 1802E504
	v_pk_mul_f32 v[154:155], v[4:5], v[154:155]                // 00000000BA94: D3B1409A 18033504
	v_mov_b32_e32 v4, v46                                      // 00000000BA9C: 7E08032E
	v_mov_b32_e32 v5, v4                                       // 00000000BAA0: 7E0A0304
	v_pk_mul_f32 v[116:117], v[4:5], v[116:117]                // 00000000BAA4: D3B14074 1802E904
	v_pk_mul_f32 v[156:157], v[4:5], v[156:157]                // 00000000BAAC: D3B1409C 18033904
	v_pk_mul_f32 v[118:119], v[4:5], v[118:119]                // 00000000BAB4: D3B14076 1802ED04
	v_pk_mul_f32 v[158:159], v[4:5], v[158:159]                // 00000000BABC: D3B1409E 18033D04
	v_mov_b32_e32 v4, v47                                      // 00000000BAC4: 7E08032F
	v_mov_b32_e32 v5, v4                                       // 00000000BAC8: 7E0A0304
	v_pk_mul_f32 v[120:121], v[4:5], v[120:121]                // 00000000BACC: D3B14078 1802F104
	v_pk_mul_f32 v[160:161], v[4:5], v[160:161]                // 00000000BAD4: D3B140A0 18034104
	v_pk_mul_f32 v[122:123], v[4:5], v[122:123]                // 00000000BADC: D3B1407A 1802F504
	v_pk_mul_f32 v[162:163], v[4:5], v[162:163]                // 00000000BAE4: D3B140A2 18034504
	v_mov_b32_e32 v4, v48                                      // 00000000BAEC: 7E080330
	v_mov_b32_e32 v5, v4                                       // 00000000BAF0: 7E0A0304
	v_pk_mul_f32 v[124:125], v[4:5], v[124:125]                // 00000000BAF4: D3B1407C 1802F904
	v_pk_mul_f32 v[164:165], v[4:5], v[164:165]                // 00000000BAFC: D3B140A4 18034904
	v_pk_mul_f32 v[126:127], v[4:5], v[126:127]                // 00000000BB04: D3B1407E 1802FD04
	v_pk_mul_f32 v[166:167], v[4:5], v[166:167]                // 00000000BB0C: D3B140A6 18034D04
	v_mov_b32_e32 v4, v49                                      // 00000000BB14: 7E080331
	v_mov_b32_e32 v5, v4                                       // 00000000BB18: 7E0A0304
	v_pk_mul_f32 v[128:129], v[4:5], v[128:129]                // 00000000BB1C: D3B14080 18030104
	v_pk_mul_f32 v[168:169], v[4:5], v[168:169]                // 00000000BB24: D3B140A8 18035104
	v_pk_mul_f32 v[130:131], v[4:5], v[130:131]                // 00000000BB2C: D3B14082 18030504
	v_pk_mul_f32 v[170:171], v[4:5], v[170:171]                // 00000000BB34: D3B140AA 18035504
	s_cmp_eq_u32 s88, 0                                        // 00000000BB3C: BF068058
	s_cbranch_scc0 label_2BB9                                  // 00000000BB40: BF840765
	s_cmp_eq_u32 s89, 0                                        // 00000000BB44: BF068059
	s_cbranch_scc1 label_25EB                                  // 00000000BB48: BF850195
	v_mov_b32_e32 v8, v1                                       // 00000000BB4C: 7E100301
	v_mov_b32_e32 v9, v1                                       // 00000000BB50: 7E120301
	s_mov_b32 s60, s6                                          // 00000000BB54: BEBC0006
	s_mov_b32 s61, s6                                          // 00000000BB58: BEBD0006
	v_pk_mul_f32 v[4:5], v[92:93], v[92:93]                    // 00000000BB5C: D3B14004 1802B95C
	v_pk_mul_f32 v[6:7], v[94:95], v[94:95]                    // 00000000BB64: D3B14006 1802BD5E
	v_pk_fma_f32 v[4:5], v[4:5], s[78:79], v[8:9]              // 00000000BB6C: D3B04004 1C209D04
	v_pk_fma_f32 v[6:7], v[6:7], s[78:79], v[8:9]              // 00000000BB74: D3B04006 1C209D06
	v_pk_mul_f32 v[4:5], v[4:5], v[92:93]                      // 00000000BB7C: D3B14004 1802B904
	v_pk_mul_f32 v[6:7], v[6:7], v[94:95]                      // 00000000BB84: D3B14006 1802BD06
	v_pk_mul_f32 v[4:5], v[4:5], s[60:61]                      // 00000000BB8C: D3B14004 18007904
	v_pk_mul_f32 v[6:7], v[6:7], s[60:61]                      // 00000000BB94: D3B14006 18007906
	v_exp_f32_e32 v4, v4                                       // 00000000BB9C: 7E084104
	v_exp_f32_e32 v5, v5                                       // 00000000BBA0: 7E0A4105
	v_exp_f32_e32 v6, v6                                       // 00000000BBA4: 7E0C4106
	v_exp_f32_e32 v7, v7                                       // 00000000BBA8: 7E0E4107
	v_add_f32_e64 v4, v4, 1.0                                  // 00000000BBAC: D1010004 0001E504
	v_add_f32_e64 v5, v5, 1.0                                  // 00000000BBB4: D1010005 0001E505
	v_add_f32_e64 v6, v6, 1.0                                  // 00000000BBBC: D1010006 0001E506
	v_add_f32_e64 v7, v7, 1.0                                  // 00000000BBC4: D1010007 0001E507
	v_rcp_f32_e32 v4, v4                                       // 00000000BBCC: 7E084504
	v_rcp_f32_e32 v5, v5                                       // 00000000BBD0: 7E0A4505
	v_rcp_f32_e32 v6, v6                                       // 00000000BBD4: 7E0C4506
	v_rcp_f32_e32 v7, v7                                       // 00000000BBD8: 7E0E4507
	v_mul_f32_e32 v92, v92, v4                                 // 00000000BBDC: 0AB8095C
	v_mul_f32_e32 v93, v93, v5                                 // 00000000BBE0: 0ABA0B5D
	v_mul_f32_e32 v94, v94, v6                                 // 00000000BBE4: 0ABC0D5E
	v_mul_f32_e32 v95, v95, v7                                 // 00000000BBE8: 0ABE0F5F
	v_mul_f32_e32 v92, v92, v132                               // 00000000BBEC: 0AB9095C
	v_mul_f32_e32 v93, v93, v133                               // 00000000BBF0: 0ABB0B5D
	v_mul_f32_e32 v94, v94, v134                               // 00000000BBF4: 0ABD0D5E
	v_mul_f32_e32 v95, v95, v135                               // 00000000BBF8: 0ABF0F5F
	v_pk_mul_f32 v[4:5], v[96:97], v[96:97]                    // 00000000BBFC: D3B14004 1802C160
	v_pk_mul_f32 v[6:7], v[98:99], v[98:99]                    // 00000000BC04: D3B14006 1802C562
	v_pk_fma_f32 v[4:5], v[4:5], s[78:79], v[8:9]              // 00000000BC0C: D3B04004 1C209D04
	v_pk_fma_f32 v[6:7], v[6:7], s[78:79], v[8:9]              // 00000000BC14: D3B04006 1C209D06
	v_pk_mul_f32 v[4:5], v[4:5], v[96:97]                      // 00000000BC1C: D3B14004 1802C104
	v_pk_mul_f32 v[6:7], v[6:7], v[98:99]                      // 00000000BC24: D3B14006 1802C506
	v_pk_mul_f32 v[4:5], v[4:5], s[60:61]                      // 00000000BC2C: D3B14004 18007904
	v_pk_mul_f32 v[6:7], v[6:7], s[60:61]                      // 00000000BC34: D3B14006 18007906
	v_exp_f32_e32 v4, v4                                       // 00000000BC3C: 7E084104
	v_exp_f32_e32 v5, v5                                       // 00000000BC40: 7E0A4105
	v_exp_f32_e32 v6, v6                                       // 00000000BC44: 7E0C4106
	v_exp_f32_e32 v7, v7                                       // 00000000BC48: 7E0E4107
	v_add_f32_e64 v4, v4, 1.0                                  // 00000000BC4C: D1010004 0001E504
	v_add_f32_e64 v5, v5, 1.0                                  // 00000000BC54: D1010005 0001E505
	v_add_f32_e64 v6, v6, 1.0                                  // 00000000BC5C: D1010006 0001E506
	v_add_f32_e64 v7, v7, 1.0                                  // 00000000BC64: D1010007 0001E507
	v_rcp_f32_e32 v4, v4                                       // 00000000BC6C: 7E084504
	v_rcp_f32_e32 v5, v5                                       // 00000000BC70: 7E0A4505
	v_rcp_f32_e32 v6, v6                                       // 00000000BC74: 7E0C4506
	v_rcp_f32_e32 v7, v7                                       // 00000000BC78: 7E0E4507
	v_mul_f32_e32 v96, v96, v4                                 // 00000000BC7C: 0AC00960
	v_mul_f32_e32 v97, v97, v5                                 // 00000000BC80: 0AC20B61
	v_mul_f32_e32 v98, v98, v6                                 // 00000000BC84: 0AC40D62
	v_mul_f32_e32 v99, v99, v7                                 // 00000000BC88: 0AC60F63
	v_mul_f32_e32 v96, v96, v136                               // 00000000BC8C: 0AC11160
	v_mul_f32_e32 v97, v97, v137                               // 00000000BC90: 0AC31361
	v_mul_f32_e32 v98, v98, v138                               // 00000000BC94: 0AC51562
	v_mul_f32_e32 v99, v99, v139                               // 00000000BC98: 0AC71763
	v_pk_mul_f32 v[4:5], v[100:101], v[100:101]                // 00000000BC9C: D3B14004 1802C964
	v_pk_mul_f32 v[6:7], v[102:103], v[102:103]                // 00000000BCA4: D3B14006 1802CD66
	v_pk_fma_f32 v[4:5], v[4:5], s[78:79], v[8:9]              // 00000000BCAC: D3B04004 1C209D04
	v_pk_fma_f32 v[6:7], v[6:7], s[78:79], v[8:9]              // 00000000BCB4: D3B04006 1C209D06
	v_pk_mul_f32 v[4:5], v[4:5], v[100:101]                    // 00000000BCBC: D3B14004 1802C904
	v_pk_mul_f32 v[6:7], v[6:7], v[102:103]                    // 00000000BCC4: D3B14006 1802CD06
	v_pk_mul_f32 v[4:5], v[4:5], s[60:61]                      // 00000000BCCC: D3B14004 18007904
	v_pk_mul_f32 v[6:7], v[6:7], s[60:61]                      // 00000000BCD4: D3B14006 18007906
	v_exp_f32_e32 v4, v4                                       // 00000000BCDC: 7E084104
	v_exp_f32_e32 v5, v5                                       // 00000000BCE0: 7E0A4105
	v_exp_f32_e32 v6, v6                                       // 00000000BCE4: 7E0C4106
	v_exp_f32_e32 v7, v7                                       // 00000000BCE8: 7E0E4107
	v_add_f32_e64 v4, v4, 1.0                                  // 00000000BCEC: D1010004 0001E504
	v_add_f32_e64 v5, v5, 1.0                                  // 00000000BCF4: D1010005 0001E505
	v_add_f32_e64 v6, v6, 1.0                                  // 00000000BCFC: D1010006 0001E506
	v_add_f32_e64 v7, v7, 1.0                                  // 00000000BD04: D1010007 0001E507
	v_rcp_f32_e32 v4, v4                                       // 00000000BD0C: 7E084504
	v_rcp_f32_e32 v5, v5                                       // 00000000BD10: 7E0A4505
	v_rcp_f32_e32 v6, v6                                       // 00000000BD14: 7E0C4506
	v_rcp_f32_e32 v7, v7                                       // 00000000BD18: 7E0E4507
	v_mul_f32_e32 v100, v100, v4                               // 00000000BD1C: 0AC80964
	v_mul_f32_e32 v101, v101, v5                               // 00000000BD20: 0ACA0B65
	v_mul_f32_e32 v102, v102, v6                               // 00000000BD24: 0ACC0D66
	v_mul_f32_e32 v103, v103, v7                               // 00000000BD28: 0ACE0F67
	v_mul_f32_e32 v100, v100, v140                             // 00000000BD2C: 0AC91964
	v_mul_f32_e32 v101, v101, v141                             // 00000000BD30: 0ACB1B65
	v_mul_f32_e32 v102, v102, v142                             // 00000000BD34: 0ACD1D66
	v_mul_f32_e32 v103, v103, v143                             // 00000000BD38: 0ACF1F67
	v_pk_mul_f32 v[4:5], v[104:105], v[104:105]                // 00000000BD3C: D3B14004 1802D168
	v_pk_mul_f32 v[6:7], v[106:107], v[106:107]                // 00000000BD44: D3B14006 1802D56A
	v_pk_fma_f32 v[4:5], v[4:5], s[78:79], v[8:9]              // 00000000BD4C: D3B04004 1C209D04
	v_pk_fma_f32 v[6:7], v[6:7], s[78:79], v[8:9]              // 00000000BD54: D3B04006 1C209D06
	v_pk_mul_f32 v[4:5], v[4:5], v[104:105]                    // 00000000BD5C: D3B14004 1802D104
	v_pk_mul_f32 v[6:7], v[6:7], v[106:107]                    // 00000000BD64: D3B14006 1802D506
	v_pk_mul_f32 v[4:5], v[4:5], s[60:61]                      // 00000000BD6C: D3B14004 18007904
	v_pk_mul_f32 v[6:7], v[6:7], s[60:61]                      // 00000000BD74: D3B14006 18007906
	v_exp_f32_e32 v4, v4                                       // 00000000BD7C: 7E084104
	v_exp_f32_e32 v5, v5                                       // 00000000BD80: 7E0A4105
	v_exp_f32_e32 v6, v6                                       // 00000000BD84: 7E0C4106
	v_exp_f32_e32 v7, v7                                       // 00000000BD88: 7E0E4107
	v_add_f32_e64 v4, v4, 1.0                                  // 00000000BD8C: D1010004 0001E504
	v_add_f32_e64 v5, v5, 1.0                                  // 00000000BD94: D1010005 0001E505
	v_add_f32_e64 v6, v6, 1.0                                  // 00000000BD9C: D1010006 0001E506
	v_add_f32_e64 v7, v7, 1.0                                  // 00000000BDA4: D1010007 0001E507
	v_rcp_f32_e32 v4, v4                                       // 00000000BDAC: 7E084504
	v_rcp_f32_e32 v5, v5                                       // 00000000BDB0: 7E0A4505
	v_rcp_f32_e32 v6, v6                                       // 00000000BDB4: 7E0C4506
	v_rcp_f32_e32 v7, v7                                       // 00000000BDB8: 7E0E4507
	v_mul_f32_e32 v104, v104, v4                               // 00000000BDBC: 0AD00968
	v_mul_f32_e32 v105, v105, v5                               // 00000000BDC0: 0AD20B69
	v_mul_f32_e32 v106, v106, v6                               // 00000000BDC4: 0AD40D6A
	v_mul_f32_e32 v107, v107, v7                               // 00000000BDC8: 0AD60F6B
	v_mul_f32_e32 v104, v104, v144                             // 00000000BDCC: 0AD12168
	v_mul_f32_e32 v105, v105, v145                             // 00000000BDD0: 0AD32369
	v_mul_f32_e32 v106, v106, v146                             // 00000000BDD4: 0AD5256A
	v_mul_f32_e32 v107, v107, v147                             // 00000000BDD8: 0AD7276B
	v_pk_mul_f32 v[4:5], v[108:109], v[108:109]                // 00000000BDDC: D3B14004 1802D96C
	v_pk_mul_f32 v[6:7], v[110:111], v[110:111]                // 00000000BDE4: D3B14006 1802DD6E
	v_pk_fma_f32 v[4:5], v[4:5], s[78:79], v[8:9]              // 00000000BDEC: D3B04004 1C209D04
	v_pk_fma_f32 v[6:7], v[6:7], s[78:79], v[8:9]              // 00000000BDF4: D3B04006 1C209D06
	v_pk_mul_f32 v[4:5], v[4:5], v[108:109]                    // 00000000BDFC: D3B14004 1802D904
	v_pk_mul_f32 v[6:7], v[6:7], v[110:111]                    // 00000000BE04: D3B14006 1802DD06
	v_pk_mul_f32 v[4:5], v[4:5], s[60:61]                      // 00000000BE0C: D3B14004 18007904
	v_pk_mul_f32 v[6:7], v[6:7], s[60:61]                      // 00000000BE14: D3B14006 18007906
	v_exp_f32_e32 v4, v4                                       // 00000000BE1C: 7E084104
	v_exp_f32_e32 v5, v5                                       // 00000000BE20: 7E0A4105
	v_exp_f32_e32 v6, v6                                       // 00000000BE24: 7E0C4106
	v_exp_f32_e32 v7, v7                                       // 00000000BE28: 7E0E4107
	v_add_f32_e64 v4, v4, 1.0                                  // 00000000BE2C: D1010004 0001E504
	v_add_f32_e64 v5, v5, 1.0                                  // 00000000BE34: D1010005 0001E505
	v_add_f32_e64 v6, v6, 1.0                                  // 00000000BE3C: D1010006 0001E506
	v_add_f32_e64 v7, v7, 1.0                                  // 00000000BE44: D1010007 0001E507
	v_rcp_f32_e32 v4, v4                                       // 00000000BE4C: 7E084504
	v_rcp_f32_e32 v5, v5                                       // 00000000BE50: 7E0A4505
	v_rcp_f32_e32 v6, v6                                       // 00000000BE54: 7E0C4506
	v_rcp_f32_e32 v7, v7                                       // 00000000BE58: 7E0E4507
	v_mul_f32_e32 v108, v108, v4                               // 00000000BE5C: 0AD8096C
	v_mul_f32_e32 v109, v109, v5                               // 00000000BE60: 0ADA0B6D
	v_mul_f32_e32 v110, v110, v6                               // 00000000BE64: 0ADC0D6E
	v_mul_f32_e32 v111, v111, v7                               // 00000000BE68: 0ADE0F6F
	v_mul_f32_e32 v108, v108, v148                             // 00000000BE6C: 0AD9296C
	v_mul_f32_e32 v109, v109, v149                             // 00000000BE70: 0ADB2B6D
	v_mul_f32_e32 v110, v110, v150                             // 00000000BE74: 0ADD2D6E
	v_mul_f32_e32 v111, v111, v151                             // 00000000BE78: 0ADF2F6F
	v_pk_mul_f32 v[4:5], v[112:113], v[112:113]                // 00000000BE7C: D3B14004 1802E170
	v_pk_mul_f32 v[6:7], v[114:115], v[114:115]                // 00000000BE84: D3B14006 1802E572
	v_pk_fma_f32 v[4:5], v[4:5], s[78:79], v[8:9]              // 00000000BE8C: D3B04004 1C209D04
	v_pk_fma_f32 v[6:7], v[6:7], s[78:79], v[8:9]              // 00000000BE94: D3B04006 1C209D06
	v_pk_mul_f32 v[4:5], v[4:5], v[112:113]                    // 00000000BE9C: D3B14004 1802E104
	v_pk_mul_f32 v[6:7], v[6:7], v[114:115]                    // 00000000BEA4: D3B14006 1802E506
	v_pk_mul_f32 v[4:5], v[4:5], s[60:61]                      // 00000000BEAC: D3B14004 18007904
	v_pk_mul_f32 v[6:7], v[6:7], s[60:61]                      // 00000000BEB4: D3B14006 18007906
	v_exp_f32_e32 v4, v4                                       // 00000000BEBC: 7E084104
	v_exp_f32_e32 v5, v5                                       // 00000000BEC0: 7E0A4105
	v_exp_f32_e32 v6, v6                                       // 00000000BEC4: 7E0C4106
	v_exp_f32_e32 v7, v7                                       // 00000000BEC8: 7E0E4107
	v_add_f32_e64 v4, v4, 1.0                                  // 00000000BECC: D1010004 0001E504
	v_add_f32_e64 v5, v5, 1.0                                  // 00000000BED4: D1010005 0001E505
	v_add_f32_e64 v6, v6, 1.0                                  // 00000000BEDC: D1010006 0001E506
	v_add_f32_e64 v7, v7, 1.0                                  // 00000000BEE4: D1010007 0001E507
	v_rcp_f32_e32 v4, v4                                       // 00000000BEEC: 7E084504
	v_rcp_f32_e32 v5, v5                                       // 00000000BEF0: 7E0A4505
	v_rcp_f32_e32 v6, v6                                       // 00000000BEF4: 7E0C4506
	v_rcp_f32_e32 v7, v7                                       // 00000000BEF8: 7E0E4507
	v_mul_f32_e32 v112, v112, v4                               // 00000000BEFC: 0AE00970
	v_mul_f32_e32 v113, v113, v5                               // 00000000BF00: 0AE20B71
	v_mul_f32_e32 v114, v114, v6                               // 00000000BF04: 0AE40D72
	v_mul_f32_e32 v115, v115, v7                               // 00000000BF08: 0AE60F73
	v_mul_f32_e32 v112, v112, v152                             // 00000000BF0C: 0AE13170
	v_mul_f32_e32 v113, v113, v153                             // 00000000BF10: 0AE33371
	v_mul_f32_e32 v114, v114, v154                             // 00000000BF14: 0AE53572
	v_mul_f32_e32 v115, v115, v155                             // 00000000BF18: 0AE73773
	v_pk_mul_f32 v[4:5], v[116:117], v[116:117]                // 00000000BF1C: D3B14004 1802E974
	v_pk_mul_f32 v[6:7], v[118:119], v[118:119]                // 00000000BF24: D3B14006 1802ED76
	v_pk_fma_f32 v[4:5], v[4:5], s[78:79], v[8:9]              // 00000000BF2C: D3B04004 1C209D04
	v_pk_fma_f32 v[6:7], v[6:7], s[78:79], v[8:9]              // 00000000BF34: D3B04006 1C209D06
	v_pk_mul_f32 v[4:5], v[4:5], v[116:117]                    // 00000000BF3C: D3B14004 1802E904
	v_pk_mul_f32 v[6:7], v[6:7], v[118:119]                    // 00000000BF44: D3B14006 1802ED06
	v_pk_mul_f32 v[4:5], v[4:5], s[60:61]                      // 00000000BF4C: D3B14004 18007904
	v_pk_mul_f32 v[6:7], v[6:7], s[60:61]                      // 00000000BF54: D3B14006 18007906
	v_exp_f32_e32 v4, v4                                       // 00000000BF5C: 7E084104
	v_exp_f32_e32 v5, v5                                       // 00000000BF60: 7E0A4105
	v_exp_f32_e32 v6, v6                                       // 00000000BF64: 7E0C4106
	v_exp_f32_e32 v7, v7                                       // 00000000BF68: 7E0E4107
	v_add_f32_e64 v4, v4, 1.0                                  // 00000000BF6C: D1010004 0001E504
	v_add_f32_e64 v5, v5, 1.0                                  // 00000000BF74: D1010005 0001E505
	v_add_f32_e64 v6, v6, 1.0                                  // 00000000BF7C: D1010006 0001E506
	v_add_f32_e64 v7, v7, 1.0                                  // 00000000BF84: D1010007 0001E507
	v_rcp_f32_e32 v4, v4                                       // 00000000BF8C: 7E084504
	v_rcp_f32_e32 v5, v5                                       // 00000000BF90: 7E0A4505
	v_rcp_f32_e32 v6, v6                                       // 00000000BF94: 7E0C4506
	v_rcp_f32_e32 v7, v7                                       // 00000000BF98: 7E0E4507
	v_mul_f32_e32 v116, v116, v4                               // 00000000BF9C: 0AE80974
	v_mul_f32_e32 v117, v117, v5                               // 00000000BFA0: 0AEA0B75
	v_mul_f32_e32 v118, v118, v6                               // 00000000BFA4: 0AEC0D76
	v_mul_f32_e32 v119, v119, v7                               // 00000000BFA8: 0AEE0F77
	v_mul_f32_e32 v116, v116, v156                             // 00000000BFAC: 0AE93974
	v_mul_f32_e32 v117, v117, v157                             // 00000000BFB0: 0AEB3B75
	v_mul_f32_e32 v118, v118, v158                             // 00000000BFB4: 0AED3D76
	v_mul_f32_e32 v119, v119, v159                             // 00000000BFB8: 0AEF3F77
	v_pk_mul_f32 v[4:5], v[120:121], v[120:121]                // 00000000BFBC: D3B14004 1802F178
	v_pk_mul_f32 v[6:7], v[122:123], v[122:123]                // 00000000BFC4: D3B14006 1802F57A
	v_pk_fma_f32 v[4:5], v[4:5], s[78:79], v[8:9]              // 00000000BFCC: D3B04004 1C209D04
	v_pk_fma_f32 v[6:7], v[6:7], s[78:79], v[8:9]              // 00000000BFD4: D3B04006 1C209D06
	v_pk_mul_f32 v[4:5], v[4:5], v[120:121]                    // 00000000BFDC: D3B14004 1802F104
	v_pk_mul_f32 v[6:7], v[6:7], v[122:123]                    // 00000000BFE4: D3B14006 1802F506
	v_pk_mul_f32 v[4:5], v[4:5], s[60:61]                      // 00000000BFEC: D3B14004 18007904
	v_pk_mul_f32 v[6:7], v[6:7], s[60:61]                      // 00000000BFF4: D3B14006 18007906
	v_exp_f32_e32 v4, v4                                       // 00000000BFFC: 7E084104
	v_exp_f32_e32 v5, v5                                       // 00000000C000: 7E0A4105
	v_exp_f32_e32 v6, v6                                       // 00000000C004: 7E0C4106
	v_exp_f32_e32 v7, v7                                       // 00000000C008: 7E0E4107
	v_add_f32_e64 v4, v4, 1.0                                  // 00000000C00C: D1010004 0001E504
	v_add_f32_e64 v5, v5, 1.0                                  // 00000000C014: D1010005 0001E505
	v_add_f32_e64 v6, v6, 1.0                                  // 00000000C01C: D1010006 0001E506
	v_add_f32_e64 v7, v7, 1.0                                  // 00000000C024: D1010007 0001E507
	v_rcp_f32_e32 v4, v4                                       // 00000000C02C: 7E084504
	v_rcp_f32_e32 v5, v5                                       // 00000000C030: 7E0A4505
	v_rcp_f32_e32 v6, v6                                       // 00000000C034: 7E0C4506
	v_rcp_f32_e32 v7, v7                                       // 00000000C038: 7E0E4507
	v_mul_f32_e32 v120, v120, v4                               // 00000000C03C: 0AF00978
	v_mul_f32_e32 v121, v121, v5                               // 00000000C040: 0AF20B79
	v_mul_f32_e32 v122, v122, v6                               // 00000000C044: 0AF40D7A
	v_mul_f32_e32 v123, v123, v7                               // 00000000C048: 0AF60F7B
	v_mul_f32_e32 v120, v120, v160                             // 00000000C04C: 0AF14178
	v_mul_f32_e32 v121, v121, v161                             // 00000000C050: 0AF34379
	v_mul_f32_e32 v122, v122, v162                             // 00000000C054: 0AF5457A
	v_mul_f32_e32 v123, v123, v163                             // 00000000C058: 0AF7477B
	v_pk_mul_f32 v[4:5], v[124:125], v[124:125]                // 00000000C05C: D3B14004 1802F97C
	v_pk_mul_f32 v[6:7], v[126:127], v[126:127]                // 00000000C064: D3B14006 1802FD7E
	v_pk_fma_f32 v[4:5], v[4:5], s[78:79], v[8:9]              // 00000000C06C: D3B04004 1C209D04
	v_pk_fma_f32 v[6:7], v[6:7], s[78:79], v[8:9]              // 00000000C074: D3B04006 1C209D06
	v_pk_mul_f32 v[4:5], v[4:5], v[124:125]                    // 00000000C07C: D3B14004 1802F904
	v_pk_mul_f32 v[6:7], v[6:7], v[126:127]                    // 00000000C084: D3B14006 1802FD06
	v_pk_mul_f32 v[4:5], v[4:5], s[60:61]                      // 00000000C08C: D3B14004 18007904
	v_pk_mul_f32 v[6:7], v[6:7], s[60:61]                      // 00000000C094: D3B14006 18007906
	v_exp_f32_e32 v4, v4                                       // 00000000C09C: 7E084104
	v_exp_f32_e32 v5, v5                                       // 00000000C0A0: 7E0A4105
	v_exp_f32_e32 v6, v6                                       // 00000000C0A4: 7E0C4106
	v_exp_f32_e32 v7, v7                                       // 00000000C0A8: 7E0E4107
	v_add_f32_e64 v4, v4, 1.0                                  // 00000000C0AC: D1010004 0001E504
	v_add_f32_e64 v5, v5, 1.0                                  // 00000000C0B4: D1010005 0001E505
	v_add_f32_e64 v6, v6, 1.0                                  // 00000000C0BC: D1010006 0001E506
	v_add_f32_e64 v7, v7, 1.0                                  // 00000000C0C4: D1010007 0001E507
	v_rcp_f32_e32 v4, v4                                       // 00000000C0CC: 7E084504
	v_rcp_f32_e32 v5, v5                                       // 00000000C0D0: 7E0A4505
	v_rcp_f32_e32 v6, v6                                       // 00000000C0D4: 7E0C4506
	v_rcp_f32_e32 v7, v7                                       // 00000000C0D8: 7E0E4507
	v_mul_f32_e32 v124, v124, v4                               // 00000000C0DC: 0AF8097C
	v_mul_f32_e32 v125, v125, v5                               // 00000000C0E0: 0AFA0B7D
	v_mul_f32_e32 v126, v126, v6                               // 00000000C0E4: 0AFC0D7E
	v_mul_f32_e32 v127, v127, v7                               // 00000000C0E8: 0AFE0F7F
	v_mul_f32_e32 v124, v124, v164                             // 00000000C0EC: 0AF9497C
	v_mul_f32_e32 v125, v125, v165                             // 00000000C0F0: 0AFB4B7D
	v_mul_f32_e32 v126, v126, v166                             // 00000000C0F4: 0AFD4D7E
	v_mul_f32_e32 v127, v127, v167                             // 00000000C0F8: 0AFF4F7F
	v_pk_mul_f32 v[4:5], v[128:129], v[128:129]                // 00000000C0FC: D3B14004 18030180
	v_pk_mul_f32 v[6:7], v[130:131], v[130:131]                // 00000000C104: D3B14006 18030582
	v_pk_fma_f32 v[4:5], v[4:5], s[78:79], v[8:9]              // 00000000C10C: D3B04004 1C209D04
	v_pk_fma_f32 v[6:7], v[6:7], s[78:79], v[8:9]              // 00000000C114: D3B04006 1C209D06
	v_pk_mul_f32 v[4:5], v[4:5], v[128:129]                    // 00000000C11C: D3B14004 18030104
	v_pk_mul_f32 v[6:7], v[6:7], v[130:131]                    // 00000000C124: D3B14006 18030506
	v_pk_mul_f32 v[4:5], v[4:5], s[60:61]                      // 00000000C12C: D3B14004 18007904
	v_pk_mul_f32 v[6:7], v[6:7], s[60:61]                      // 00000000C134: D3B14006 18007906
	v_exp_f32_e32 v4, v4                                       // 00000000C13C: 7E084104
	v_exp_f32_e32 v5, v5                                       // 00000000C140: 7E0A4105
	v_exp_f32_e32 v6, v6                                       // 00000000C144: 7E0C4106
	v_exp_f32_e32 v7, v7                                       // 00000000C148: 7E0E4107
	v_add_f32_e64 v4, v4, 1.0                                  // 00000000C14C: D1010004 0001E504
	v_add_f32_e64 v5, v5, 1.0                                  // 00000000C154: D1010005 0001E505
	v_add_f32_e64 v6, v6, 1.0                                  // 00000000C15C: D1010006 0001E506
	v_add_f32_e64 v7, v7, 1.0                                  // 00000000C164: D1010007 0001E507
	v_rcp_f32_e32 v4, v4                                       // 00000000C16C: 7E084504
	v_rcp_f32_e32 v5, v5                                       // 00000000C170: 7E0A4505
	v_rcp_f32_e32 v6, v6                                       // 00000000C174: 7E0C4506
	v_rcp_f32_e32 v7, v7                                       // 00000000C178: 7E0E4507
	v_mul_f32_e32 v128, v128, v4                               // 00000000C17C: 0B000980
	v_mul_f32_e32 v129, v129, v5                               // 00000000C180: 0B020B81
	v_mul_f32_e32 v130, v130, v6                               // 00000000C184: 0B040D82
	v_mul_f32_e32 v131, v131, v7                               // 00000000C188: 0B060F83
	v_mul_f32_e32 v128, v128, v168                             // 00000000C18C: 0B015180
	v_mul_f32_e32 v129, v129, v169                             // 00000000C190: 0B035381
	v_mul_f32_e32 v130, v130, v170                             // 00000000C194: 0B055582
	v_mul_f32_e32 v131, v131, v171                             // 00000000C198: 0B075783
	s_branch label_272B                                        // 00000000C19C: BF820140

000000000000c1a0 <label_25EB>:
	v_mul_f32_e64 v4, -v92, s6                                 // 00000000C1A0: D1050004 20000D5C
	v_mul_f32_e64 v5, -v93, s6                                 // 00000000C1A8: D1050005 20000D5D
	v_mul_f32_e64 v6, -v94, s6                                 // 00000000C1B0: D1050006 20000D5E
	v_mul_f32_e64 v7, -v95, s6                                 // 00000000C1B8: D1050007 20000D5F
	v_exp_f32_e32 v4, v4                                       // 00000000C1C0: 7E084104
	v_exp_f32_e32 v5, v5                                       // 00000000C1C4: 7E0A4105
	v_exp_f32_e32 v6, v6                                       // 00000000C1C8: 7E0C4106
	v_exp_f32_e32 v7, v7                                       // 00000000C1CC: 7E0E4107
	v_add_f32_e64 v4, v4, 1.0                                  // 00000000C1D0: D1010004 0001E504
	v_add_f32_e64 v5, v5, 1.0                                  // 00000000C1D8: D1010005 0001E505
	v_add_f32_e64 v6, v6, 1.0                                  // 00000000C1E0: D1010006 0001E506
	v_add_f32_e64 v7, v7, 1.0                                  // 00000000C1E8: D1010007 0001E507
	v_rcp_f32_e32 v4, v4                                       // 00000000C1F0: 7E084504
	v_rcp_f32_e32 v5, v5                                       // 00000000C1F4: 7E0A4505
	v_rcp_f32_e32 v6, v6                                       // 00000000C1F8: 7E0C4506
	v_rcp_f32_e32 v7, v7                                       // 00000000C1FC: 7E0E4507
	v_mul_f32_e32 v92, v92, v4                                 // 00000000C200: 0AB8095C
	v_mul_f32_e32 v93, v93, v5                                 // 00000000C204: 0ABA0B5D
	v_mul_f32_e32 v94, v94, v6                                 // 00000000C208: 0ABC0D5E
	v_mul_f32_e32 v95, v95, v7                                 // 00000000C20C: 0ABE0F5F
	v_mul_f32_e32 v92, v92, v132                               // 00000000C210: 0AB9095C
	v_mul_f32_e32 v93, v93, v133                               // 00000000C214: 0ABB0B5D
	v_mul_f32_e32 v94, v94, v134                               // 00000000C218: 0ABD0D5E
	v_mul_f32_e32 v95, v95, v135                               // 00000000C21C: 0ABF0F5F
	v_mul_f32_e64 v4, -v96, s6                                 // 00000000C220: D1050004 20000D60
	v_mul_f32_e64 v5, -v97, s6                                 // 00000000C228: D1050005 20000D61
	v_mul_f32_e64 v6, -v98, s6                                 // 00000000C230: D1050006 20000D62
	v_mul_f32_e64 v7, -v99, s6                                 // 00000000C238: D1050007 20000D63
	v_exp_f32_e32 v4, v4                                       // 00000000C240: 7E084104
	v_exp_f32_e32 v5, v5                                       // 00000000C244: 7E0A4105
	v_exp_f32_e32 v6, v6                                       // 00000000C248: 7E0C4106
	v_exp_f32_e32 v7, v7                                       // 00000000C24C: 7E0E4107
	v_add_f32_e64 v4, v4, 1.0                                  // 00000000C250: D1010004 0001E504
	v_add_f32_e64 v5, v5, 1.0                                  // 00000000C258: D1010005 0001E505
	v_add_f32_e64 v6, v6, 1.0                                  // 00000000C260: D1010006 0001E506
	v_add_f32_e64 v7, v7, 1.0                                  // 00000000C268: D1010007 0001E507
	v_rcp_f32_e32 v4, v4                                       // 00000000C270: 7E084504
	v_rcp_f32_e32 v5, v5                                       // 00000000C274: 7E0A4505
	v_rcp_f32_e32 v6, v6                                       // 00000000C278: 7E0C4506
	v_rcp_f32_e32 v7, v7                                       // 00000000C27C: 7E0E4507
	v_mul_f32_e32 v96, v96, v4                                 // 00000000C280: 0AC00960
	v_mul_f32_e32 v97, v97, v5                                 // 00000000C284: 0AC20B61
	v_mul_f32_e32 v98, v98, v6                                 // 00000000C288: 0AC40D62
	v_mul_f32_e32 v99, v99, v7                                 // 00000000C28C: 0AC60F63
	v_mul_f32_e32 v96, v96, v136                               // 00000000C290: 0AC11160
	v_mul_f32_e32 v97, v97, v137                               // 00000000C294: 0AC31361
	v_mul_f32_e32 v98, v98, v138                               // 00000000C298: 0AC51562
	v_mul_f32_e32 v99, v99, v139                               // 00000000C29C: 0AC71763
	v_mul_f32_e64 v4, -v100, s6                                // 00000000C2A0: D1050004 20000D64
	v_mul_f32_e64 v5, -v101, s6                                // 00000000C2A8: D1050005 20000D65
	v_mul_f32_e64 v6, -v102, s6                                // 00000000C2B0: D1050006 20000D66
	v_mul_f32_e64 v7, -v103, s6                                // 00000000C2B8: D1050007 20000D67
	v_exp_f32_e32 v4, v4                                       // 00000000C2C0: 7E084104
	v_exp_f32_e32 v5, v5                                       // 00000000C2C4: 7E0A4105
	v_exp_f32_e32 v6, v6                                       // 00000000C2C8: 7E0C4106
	v_exp_f32_e32 v7, v7                                       // 00000000C2CC: 7E0E4107
	v_add_f32_e64 v4, v4, 1.0                                  // 00000000C2D0: D1010004 0001E504
	v_add_f32_e64 v5, v5, 1.0                                  // 00000000C2D8: D1010005 0001E505
	v_add_f32_e64 v6, v6, 1.0                                  // 00000000C2E0: D1010006 0001E506
	v_add_f32_e64 v7, v7, 1.0                                  // 00000000C2E8: D1010007 0001E507
	v_rcp_f32_e32 v4, v4                                       // 00000000C2F0: 7E084504
	v_rcp_f32_e32 v5, v5                                       // 00000000C2F4: 7E0A4505
	v_rcp_f32_e32 v6, v6                                       // 00000000C2F8: 7E0C4506
	v_rcp_f32_e32 v7, v7                                       // 00000000C2FC: 7E0E4507
	v_mul_f32_e32 v100, v100, v4                               // 00000000C300: 0AC80964
	v_mul_f32_e32 v101, v101, v5                               // 00000000C304: 0ACA0B65
	v_mul_f32_e32 v102, v102, v6                               // 00000000C308: 0ACC0D66
	v_mul_f32_e32 v103, v103, v7                               // 00000000C30C: 0ACE0F67
	v_mul_f32_e32 v100, v100, v140                             // 00000000C310: 0AC91964
	v_mul_f32_e32 v101, v101, v141                             // 00000000C314: 0ACB1B65
	v_mul_f32_e32 v102, v102, v142                             // 00000000C318: 0ACD1D66
	v_mul_f32_e32 v103, v103, v143                             // 00000000C31C: 0ACF1F67
	v_mul_f32_e64 v4, -v104, s6                                // 00000000C320: D1050004 20000D68
	v_mul_f32_e64 v5, -v105, s6                                // 00000000C328: D1050005 20000D69
	v_mul_f32_e64 v6, -v106, s6                                // 00000000C330: D1050006 20000D6A
	v_mul_f32_e64 v7, -v107, s6                                // 00000000C338: D1050007 20000D6B
	v_exp_f32_e32 v4, v4                                       // 00000000C340: 7E084104
	v_exp_f32_e32 v5, v5                                       // 00000000C344: 7E0A4105
	v_exp_f32_e32 v6, v6                                       // 00000000C348: 7E0C4106
	v_exp_f32_e32 v7, v7                                       // 00000000C34C: 7E0E4107
	v_add_f32_e64 v4, v4, 1.0                                  // 00000000C350: D1010004 0001E504
	v_add_f32_e64 v5, v5, 1.0                                  // 00000000C358: D1010005 0001E505
	v_add_f32_e64 v6, v6, 1.0                                  // 00000000C360: D1010006 0001E506
	v_add_f32_e64 v7, v7, 1.0                                  // 00000000C368: D1010007 0001E507
	v_rcp_f32_e32 v4, v4                                       // 00000000C370: 7E084504
	v_rcp_f32_e32 v5, v5                                       // 00000000C374: 7E0A4505
	v_rcp_f32_e32 v6, v6                                       // 00000000C378: 7E0C4506
	v_rcp_f32_e32 v7, v7                                       // 00000000C37C: 7E0E4507
	v_mul_f32_e32 v104, v104, v4                               // 00000000C380: 0AD00968
	v_mul_f32_e32 v105, v105, v5                               // 00000000C384: 0AD20B69
	v_mul_f32_e32 v106, v106, v6                               // 00000000C388: 0AD40D6A
	v_mul_f32_e32 v107, v107, v7                               // 00000000C38C: 0AD60F6B
	v_mul_f32_e32 v104, v104, v144                             // 00000000C390: 0AD12168
	v_mul_f32_e32 v105, v105, v145                             // 00000000C394: 0AD32369
	v_mul_f32_e32 v106, v106, v146                             // 00000000C398: 0AD5256A
	v_mul_f32_e32 v107, v107, v147                             // 00000000C39C: 0AD7276B
	v_mul_f32_e64 v4, -v108, s6                                // 00000000C3A0: D1050004 20000D6C
	v_mul_f32_e64 v5, -v109, s6                                // 00000000C3A8: D1050005 20000D6D
	v_mul_f32_e64 v6, -v110, s6                                // 00000000C3B0: D1050006 20000D6E
	v_mul_f32_e64 v7, -v111, s6                                // 00000000C3B8: D1050007 20000D6F
	v_exp_f32_e32 v4, v4                                       // 00000000C3C0: 7E084104
	v_exp_f32_e32 v5, v5                                       // 00000000C3C4: 7E0A4105
	v_exp_f32_e32 v6, v6                                       // 00000000C3C8: 7E0C4106
	v_exp_f32_e32 v7, v7                                       // 00000000C3CC: 7E0E4107
	v_add_f32_e64 v4, v4, 1.0                                  // 00000000C3D0: D1010004 0001E504
	v_add_f32_e64 v5, v5, 1.0                                  // 00000000C3D8: D1010005 0001E505
	v_add_f32_e64 v6, v6, 1.0                                  // 00000000C3E0: D1010006 0001E506
	v_add_f32_e64 v7, v7, 1.0                                  // 00000000C3E8: D1010007 0001E507
	v_rcp_f32_e32 v4, v4                                       // 00000000C3F0: 7E084504
	v_rcp_f32_e32 v5, v5                                       // 00000000C3F4: 7E0A4505
	v_rcp_f32_e32 v6, v6                                       // 00000000C3F8: 7E0C4506
	v_rcp_f32_e32 v7, v7                                       // 00000000C3FC: 7E0E4507
	v_mul_f32_e32 v108, v108, v4                               // 00000000C400: 0AD8096C
	v_mul_f32_e32 v109, v109, v5                               // 00000000C404: 0ADA0B6D
	v_mul_f32_e32 v110, v110, v6                               // 00000000C408: 0ADC0D6E
	v_mul_f32_e32 v111, v111, v7                               // 00000000C40C: 0ADE0F6F
	v_mul_f32_e32 v108, v108, v148                             // 00000000C410: 0AD9296C
	v_mul_f32_e32 v109, v109, v149                             // 00000000C414: 0ADB2B6D
	v_mul_f32_e32 v110, v110, v150                             // 00000000C418: 0ADD2D6E
	v_mul_f32_e32 v111, v111, v151                             // 00000000C41C: 0ADF2F6F
	v_mul_f32_e64 v4, -v112, s6                                // 00000000C420: D1050004 20000D70
	v_mul_f32_e64 v5, -v113, s6                                // 00000000C428: D1050005 20000D71
	v_mul_f32_e64 v6, -v114, s6                                // 00000000C430: D1050006 20000D72
	v_mul_f32_e64 v7, -v115, s6                                // 00000000C438: D1050007 20000D73
	v_exp_f32_e32 v4, v4                                       // 00000000C440: 7E084104
	v_exp_f32_e32 v5, v5                                       // 00000000C444: 7E0A4105
	v_exp_f32_e32 v6, v6                                       // 00000000C448: 7E0C4106
	v_exp_f32_e32 v7, v7                                       // 00000000C44C: 7E0E4107
	v_add_f32_e64 v4, v4, 1.0                                  // 00000000C450: D1010004 0001E504
	v_add_f32_e64 v5, v5, 1.0                                  // 00000000C458: D1010005 0001E505
	v_add_f32_e64 v6, v6, 1.0                                  // 00000000C460: D1010006 0001E506
	v_add_f32_e64 v7, v7, 1.0                                  // 00000000C468: D1010007 0001E507
	v_rcp_f32_e32 v4, v4                                       // 00000000C470: 7E084504
	v_rcp_f32_e32 v5, v5                                       // 00000000C474: 7E0A4505
	v_rcp_f32_e32 v6, v6                                       // 00000000C478: 7E0C4506
	v_rcp_f32_e32 v7, v7                                       // 00000000C47C: 7E0E4507
	v_mul_f32_e32 v112, v112, v4                               // 00000000C480: 0AE00970
	v_mul_f32_e32 v113, v113, v5                               // 00000000C484: 0AE20B71
	v_mul_f32_e32 v114, v114, v6                               // 00000000C488: 0AE40D72
	v_mul_f32_e32 v115, v115, v7                               // 00000000C48C: 0AE60F73
	v_mul_f32_e32 v112, v112, v152                             // 00000000C490: 0AE13170
	v_mul_f32_e32 v113, v113, v153                             // 00000000C494: 0AE33371
	v_mul_f32_e32 v114, v114, v154                             // 00000000C498: 0AE53572
	v_mul_f32_e32 v115, v115, v155                             // 00000000C49C: 0AE73773
	v_mul_f32_e64 v4, -v116, s6                                // 00000000C4A0: D1050004 20000D74
	v_mul_f32_e64 v5, -v117, s6                                // 00000000C4A8: D1050005 20000D75
	v_mul_f32_e64 v6, -v118, s6                                // 00000000C4B0: D1050006 20000D76
	v_mul_f32_e64 v7, -v119, s6                                // 00000000C4B8: D1050007 20000D77
	v_exp_f32_e32 v4, v4                                       // 00000000C4C0: 7E084104
	v_exp_f32_e32 v5, v5                                       // 00000000C4C4: 7E0A4105
	v_exp_f32_e32 v6, v6                                       // 00000000C4C8: 7E0C4106
	v_exp_f32_e32 v7, v7                                       // 00000000C4CC: 7E0E4107
	v_add_f32_e64 v4, v4, 1.0                                  // 00000000C4D0: D1010004 0001E504
	v_add_f32_e64 v5, v5, 1.0                                  // 00000000C4D8: D1010005 0001E505
	v_add_f32_e64 v6, v6, 1.0                                  // 00000000C4E0: D1010006 0001E506
	v_add_f32_e64 v7, v7, 1.0                                  // 00000000C4E8: D1010007 0001E507
	v_rcp_f32_e32 v4, v4                                       // 00000000C4F0: 7E084504
	v_rcp_f32_e32 v5, v5                                       // 00000000C4F4: 7E0A4505
	v_rcp_f32_e32 v6, v6                                       // 00000000C4F8: 7E0C4506
	v_rcp_f32_e32 v7, v7                                       // 00000000C4FC: 7E0E4507
	v_mul_f32_e32 v116, v116, v4                               // 00000000C500: 0AE80974
	v_mul_f32_e32 v117, v117, v5                               // 00000000C504: 0AEA0B75
	v_mul_f32_e32 v118, v118, v6                               // 00000000C508: 0AEC0D76
	v_mul_f32_e32 v119, v119, v7                               // 00000000C50C: 0AEE0F77
	v_mul_f32_e32 v116, v116, v156                             // 00000000C510: 0AE93974
	v_mul_f32_e32 v117, v117, v157                             // 00000000C514: 0AEB3B75
	v_mul_f32_e32 v118, v118, v158                             // 00000000C518: 0AED3D76
	v_mul_f32_e32 v119, v119, v159                             // 00000000C51C: 0AEF3F77
	v_mul_f32_e64 v4, -v120, s6                                // 00000000C520: D1050004 20000D78
	v_mul_f32_e64 v5, -v121, s6                                // 00000000C528: D1050005 20000D79
	v_mul_f32_e64 v6, -v122, s6                                // 00000000C530: D1050006 20000D7A
	v_mul_f32_e64 v7, -v123, s6                                // 00000000C538: D1050007 20000D7B
	v_exp_f32_e32 v4, v4                                       // 00000000C540: 7E084104
	v_exp_f32_e32 v5, v5                                       // 00000000C544: 7E0A4105
	v_exp_f32_e32 v6, v6                                       // 00000000C548: 7E0C4106
	v_exp_f32_e32 v7, v7                                       // 00000000C54C: 7E0E4107
	v_add_f32_e64 v4, v4, 1.0                                  // 00000000C550: D1010004 0001E504
	v_add_f32_e64 v5, v5, 1.0                                  // 00000000C558: D1010005 0001E505
	v_add_f32_e64 v6, v6, 1.0                                  // 00000000C560: D1010006 0001E506
	v_add_f32_e64 v7, v7, 1.0                                  // 00000000C568: D1010007 0001E507
	v_rcp_f32_e32 v4, v4                                       // 00000000C570: 7E084504
	v_rcp_f32_e32 v5, v5                                       // 00000000C574: 7E0A4505
	v_rcp_f32_e32 v6, v6                                       // 00000000C578: 7E0C4506
	v_rcp_f32_e32 v7, v7                                       // 00000000C57C: 7E0E4507
	v_mul_f32_e32 v120, v120, v4                               // 00000000C580: 0AF00978
	v_mul_f32_e32 v121, v121, v5                               // 00000000C584: 0AF20B79
	v_mul_f32_e32 v122, v122, v6                               // 00000000C588: 0AF40D7A
	v_mul_f32_e32 v123, v123, v7                               // 00000000C58C: 0AF60F7B
	v_mul_f32_e32 v120, v120, v160                             // 00000000C590: 0AF14178
	v_mul_f32_e32 v121, v121, v161                             // 00000000C594: 0AF34379
	v_mul_f32_e32 v122, v122, v162                             // 00000000C598: 0AF5457A
	v_mul_f32_e32 v123, v123, v163                             // 00000000C59C: 0AF7477B
	v_mul_f32_e64 v4, -v124, s6                                // 00000000C5A0: D1050004 20000D7C
	v_mul_f32_e64 v5, -v125, s6                                // 00000000C5A8: D1050005 20000D7D
	v_mul_f32_e64 v6, -v126, s6                                // 00000000C5B0: D1050006 20000D7E
	v_mul_f32_e64 v7, -v127, s6                                // 00000000C5B8: D1050007 20000D7F
	v_exp_f32_e32 v4, v4                                       // 00000000C5C0: 7E084104
	v_exp_f32_e32 v5, v5                                       // 00000000C5C4: 7E0A4105
	v_exp_f32_e32 v6, v6                                       // 00000000C5C8: 7E0C4106
	v_exp_f32_e32 v7, v7                                       // 00000000C5CC: 7E0E4107
	v_add_f32_e64 v4, v4, 1.0                                  // 00000000C5D0: D1010004 0001E504
	v_add_f32_e64 v5, v5, 1.0                                  // 00000000C5D8: D1010005 0001E505
	v_add_f32_e64 v6, v6, 1.0                                  // 00000000C5E0: D1010006 0001E506
	v_add_f32_e64 v7, v7, 1.0                                  // 00000000C5E8: D1010007 0001E507
	v_rcp_f32_e32 v4, v4                                       // 00000000C5F0: 7E084504
	v_rcp_f32_e32 v5, v5                                       // 00000000C5F4: 7E0A4505
	v_rcp_f32_e32 v6, v6                                       // 00000000C5F8: 7E0C4506
	v_rcp_f32_e32 v7, v7                                       // 00000000C5FC: 7E0E4507
	v_mul_f32_e32 v124, v124, v4                               // 00000000C600: 0AF8097C
	v_mul_f32_e32 v125, v125, v5                               // 00000000C604: 0AFA0B7D
	v_mul_f32_e32 v126, v126, v6                               // 00000000C608: 0AFC0D7E
	v_mul_f32_e32 v127, v127, v7                               // 00000000C60C: 0AFE0F7F
	v_mul_f32_e32 v124, v124, v164                             // 00000000C610: 0AF9497C
	v_mul_f32_e32 v125, v125, v165                             // 00000000C614: 0AFB4B7D
	v_mul_f32_e32 v126, v126, v166                             // 00000000C618: 0AFD4D7E
	v_mul_f32_e32 v127, v127, v167                             // 00000000C61C: 0AFF4F7F
	v_mul_f32_e64 v4, -v128, s6                                // 00000000C620: D1050004 20000D80
	v_mul_f32_e64 v5, -v129, s6                                // 00000000C628: D1050005 20000D81
	v_mul_f32_e64 v6, -v130, s6                                // 00000000C630: D1050006 20000D82
	v_mul_f32_e64 v7, -v131, s6                                // 00000000C638: D1050007 20000D83
	v_exp_f32_e32 v4, v4                                       // 00000000C640: 7E084104
	v_exp_f32_e32 v5, v5                                       // 00000000C644: 7E0A4105
	v_exp_f32_e32 v6, v6                                       // 00000000C648: 7E0C4106
	v_exp_f32_e32 v7, v7                                       // 00000000C64C: 7E0E4107
	v_add_f32_e64 v4, v4, 1.0                                  // 00000000C650: D1010004 0001E504
	v_add_f32_e64 v5, v5, 1.0                                  // 00000000C658: D1010005 0001E505
	v_add_f32_e64 v6, v6, 1.0                                  // 00000000C660: D1010006 0001E506
	v_add_f32_e64 v7, v7, 1.0                                  // 00000000C668: D1010007 0001E507
	v_rcp_f32_e32 v4, v4                                       // 00000000C670: 7E084504
	v_rcp_f32_e32 v5, v5                                       // 00000000C674: 7E0A4505
	v_rcp_f32_e32 v6, v6                                       // 00000000C678: 7E0C4506
	v_rcp_f32_e32 v7, v7                                       // 00000000C67C: 7E0E4507
	v_mul_f32_e32 v128, v128, v4                               // 00000000C680: 0B000980
	v_mul_f32_e32 v129, v129, v5                               // 00000000C684: 0B020B81
	v_mul_f32_e32 v130, v130, v6                               // 00000000C688: 0B040D82
	v_mul_f32_e32 v131, v131, v7                               // 00000000C68C: 0B060F83
	v_mul_f32_e32 v128, v128, v168                             // 00000000C690: 0B015180
	v_mul_f32_e32 v129, v129, v169                             // 00000000C694: 0B035381
	v_mul_f32_e32 v130, v130, v170                             // 00000000C698: 0B055582
	v_mul_f32_e32 v131, v131, v171                             // 00000000C69C: 0B075783

000000000000c6a0 <label_272B>:
	v_cmp_u_f32_e64 s[46:47], v92, v92                         // 00000000C6A0: D048002E 0002B95C
	v_add3_u32 v16, v92, v19, 1                                // 00000000C6A8: D1FF0010 0206275C
	v_cndmask_b32_e64 v4, v16, v18, s[46:47]                   // 00000000C6B0: D1000004 00BA2510
	v_cmp_u_f32_e64 s[46:47], v93, v93                         // 00000000C6B8: D048002E 0002BB5D
	v_add3_u32 v16, v93, v19, 1                                // 00000000C6C0: D1FF0010 0206275D
	v_cndmask_b32_e64 v5, v16, v18, s[46:47]                   // 00000000C6C8: D1000005 00BA2510
	v_perm_b32 v92, v5, v4, s52                                // 00000000C6D0: D1ED005C 00D20905
	v_cmp_u_f32_e64 s[46:47], v94, v94                         // 00000000C6D8: D048002E 0002BD5E
	v_add3_u32 v16, v94, v19, 1                                // 00000000C6E0: D1FF0010 0206275E
	v_cndmask_b32_e64 v4, v16, v18, s[46:47]                   // 00000000C6E8: D1000004 00BA2510
	v_cmp_u_f32_e64 s[46:47], v95, v95                         // 00000000C6F0: D048002E 0002BF5F
	v_add3_u32 v16, v95, v19, 1                                // 00000000C6F8: D1FF0010 0206275F
	v_cndmask_b32_e64 v5, v16, v18, s[46:47]                   // 00000000C700: D1000005 00BA2510
	v_perm_b32 v93, v5, v4, s52                                // 00000000C708: D1ED005D 00D20905
	v_cmp_u_f32_e64 s[46:47], v96, v96                         // 00000000C710: D048002E 0002C160
	v_add3_u32 v16, v96, v19, 1                                // 00000000C718: D1FF0010 02062760
	v_cndmask_b32_e64 v4, v16, v18, s[46:47]                   // 00000000C720: D1000004 00BA2510
	v_cmp_u_f32_e64 s[46:47], v97, v97                         // 00000000C728: D048002E 0002C361
	v_add3_u32 v16, v97, v19, 1                                // 00000000C730: D1FF0010 02062761
	v_cndmask_b32_e64 v5, v16, v18, s[46:47]                   // 00000000C738: D1000005 00BA2510
	v_perm_b32 v94, v5, v4, s52                                // 00000000C740: D1ED005E 00D20905
	v_cmp_u_f32_e64 s[46:47], v98, v98                         // 00000000C748: D048002E 0002C562
	v_add3_u32 v16, v98, v19, 1                                // 00000000C750: D1FF0010 02062762
	v_cndmask_b32_e64 v4, v16, v18, s[46:47]                   // 00000000C758: D1000004 00BA2510
	v_cmp_u_f32_e64 s[46:47], v99, v99                         // 00000000C760: D048002E 0002C763
	v_add3_u32 v16, v99, v19, 1                                // 00000000C768: D1FF0010 02062763
	v_cndmask_b32_e64 v5, v16, v18, s[46:47]                   // 00000000C770: D1000005 00BA2510
	v_perm_b32 v95, v5, v4, s52                                // 00000000C778: D1ED005F 00D20905
	v_cmp_u_f32_e64 s[46:47], v100, v100                       // 00000000C780: D048002E 0002C964
	v_add3_u32 v16, v100, v19, 1                               // 00000000C788: D1FF0010 02062764
	v_cndmask_b32_e64 v4, v16, v18, s[46:47]                   // 00000000C790: D1000004 00BA2510
	v_cmp_u_f32_e64 s[46:47], v101, v101                       // 00000000C798: D048002E 0002CB65
	v_add3_u32 v16, v101, v19, 1                               // 00000000C7A0: D1FF0010 02062765
	v_cndmask_b32_e64 v5, v16, v18, s[46:47]                   // 00000000C7A8: D1000005 00BA2510
	v_perm_b32 v96, v5, v4, s52                                // 00000000C7B0: D1ED0060 00D20905
	v_cmp_u_f32_e64 s[46:47], v102, v102                       // 00000000C7B8: D048002E 0002CD66
	v_add3_u32 v16, v102, v19, 1                               // 00000000C7C0: D1FF0010 02062766
	v_cndmask_b32_e64 v4, v16, v18, s[46:47]                   // 00000000C7C8: D1000004 00BA2510
	v_cmp_u_f32_e64 s[46:47], v103, v103                       // 00000000C7D0: D048002E 0002CF67
	v_add3_u32 v16, v103, v19, 1                               // 00000000C7D8: D1FF0010 02062767
	v_cndmask_b32_e64 v5, v16, v18, s[46:47]                   // 00000000C7E0: D1000005 00BA2510
	v_perm_b32 v97, v5, v4, s52                                // 00000000C7E8: D1ED0061 00D20905
	v_cmp_u_f32_e64 s[46:47], v104, v104                       // 00000000C7F0: D048002E 0002D168
	v_add3_u32 v16, v104, v19, 1                               // 00000000C7F8: D1FF0010 02062768
	v_cndmask_b32_e64 v4, v16, v18, s[46:47]                   // 00000000C800: D1000004 00BA2510
	v_cmp_u_f32_e64 s[46:47], v105, v105                       // 00000000C808: D048002E 0002D369
	v_add3_u32 v16, v105, v19, 1                               // 00000000C810: D1FF0010 02062769
	v_cndmask_b32_e64 v5, v16, v18, s[46:47]                   // 00000000C818: D1000005 00BA2510
	v_perm_b32 v98, v5, v4, s52                                // 00000000C820: D1ED0062 00D20905
	v_cmp_u_f32_e64 s[46:47], v106, v106                       // 00000000C828: D048002E 0002D56A
	v_add3_u32 v16, v106, v19, 1                               // 00000000C830: D1FF0010 0206276A
	v_cndmask_b32_e64 v4, v16, v18, s[46:47]                   // 00000000C838: D1000004 00BA2510
	v_cmp_u_f32_e64 s[46:47], v107, v107                       // 00000000C840: D048002E 0002D76B
	v_add3_u32 v16, v107, v19, 1                               // 00000000C848: D1FF0010 0206276B
	v_cndmask_b32_e64 v5, v16, v18, s[46:47]                   // 00000000C850: D1000005 00BA2510
	v_perm_b32 v99, v5, v4, s52                                // 00000000C858: D1ED0063 00D20905
	v_cmp_u_f32_e64 s[46:47], v108, v108                       // 00000000C860: D048002E 0002D96C
	v_add3_u32 v16, v108, v19, 1                               // 00000000C868: D1FF0010 0206276C
	v_cndmask_b32_e64 v4, v16, v18, s[46:47]                   // 00000000C870: D1000004 00BA2510
	v_cmp_u_f32_e64 s[46:47], v109, v109                       // 00000000C878: D048002E 0002DB6D
	v_add3_u32 v16, v109, v19, 1                               // 00000000C880: D1FF0010 0206276D
	v_cndmask_b32_e64 v5, v16, v18, s[46:47]                   // 00000000C888: D1000005 00BA2510
	v_perm_b32 v100, v5, v4, s52                               // 00000000C890: D1ED0064 00D20905
	v_cmp_u_f32_e64 s[46:47], v110, v110                       // 00000000C898: D048002E 0002DD6E
	v_add3_u32 v16, v110, v19, 1                               // 00000000C8A0: D1FF0010 0206276E
	v_cndmask_b32_e64 v4, v16, v18, s[46:47]                   // 00000000C8A8: D1000004 00BA2510
	v_cmp_u_f32_e64 s[46:47], v111, v111                       // 00000000C8B0: D048002E 0002DF6F
	v_add3_u32 v16, v111, v19, 1                               // 00000000C8B8: D1FF0010 0206276F
	v_cndmask_b32_e64 v5, v16, v18, s[46:47]                   // 00000000C8C0: D1000005 00BA2510
	v_perm_b32 v101, v5, v4, s52                               // 00000000C8C8: D1ED0065 00D20905
	v_cmp_u_f32_e64 s[46:47], v112, v112                       // 00000000C8D0: D048002E 0002E170
	v_add3_u32 v16, v112, v19, 1                               // 00000000C8D8: D1FF0010 02062770
	v_cndmask_b32_e64 v4, v16, v18, s[46:47]                   // 00000000C8E0: D1000004 00BA2510
	v_cmp_u_f32_e64 s[46:47], v113, v113                       // 00000000C8E8: D048002E 0002E371
	v_add3_u32 v16, v113, v19, 1                               // 00000000C8F0: D1FF0010 02062771
	v_cndmask_b32_e64 v5, v16, v18, s[46:47]                   // 00000000C8F8: D1000005 00BA2510
	v_perm_b32 v102, v5, v4, s52                               // 00000000C900: D1ED0066 00D20905
	v_cmp_u_f32_e64 s[46:47], v114, v114                       // 00000000C908: D048002E 0002E572
	v_add3_u32 v16, v114, v19, 1                               // 00000000C910: D1FF0010 02062772
	v_cndmask_b32_e64 v4, v16, v18, s[46:47]                   // 00000000C918: D1000004 00BA2510
	v_cmp_u_f32_e64 s[46:47], v115, v115                       // 00000000C920: D048002E 0002E773
	v_add3_u32 v16, v115, v19, 1                               // 00000000C928: D1FF0010 02062773
	v_cndmask_b32_e64 v5, v16, v18, s[46:47]                   // 00000000C930: D1000005 00BA2510
	v_perm_b32 v103, v5, v4, s52                               // 00000000C938: D1ED0067 00D20905
	v_cmp_u_f32_e64 s[46:47], v116, v116                       // 00000000C940: D048002E 0002E974
	v_add3_u32 v16, v116, v19, 1                               // 00000000C948: D1FF0010 02062774
	v_cndmask_b32_e64 v4, v16, v18, s[46:47]                   // 00000000C950: D1000004 00BA2510
	v_cmp_u_f32_e64 s[46:47], v117, v117                       // 00000000C958: D048002E 0002EB75
	v_add3_u32 v16, v117, v19, 1                               // 00000000C960: D1FF0010 02062775
	v_cndmask_b32_e64 v5, v16, v18, s[46:47]                   // 00000000C968: D1000005 00BA2510
	v_perm_b32 v104, v5, v4, s52                               // 00000000C970: D1ED0068 00D20905
	v_cmp_u_f32_e64 s[46:47], v118, v118                       // 00000000C978: D048002E 0002ED76
	v_add3_u32 v16, v118, v19, 1                               // 00000000C980: D1FF0010 02062776
	v_cndmask_b32_e64 v4, v16, v18, s[46:47]                   // 00000000C988: D1000004 00BA2510
	v_cmp_u_f32_e64 s[46:47], v119, v119                       // 00000000C990: D048002E 0002EF77
	v_add3_u32 v16, v119, v19, 1                               // 00000000C998: D1FF0010 02062777
	v_cndmask_b32_e64 v5, v16, v18, s[46:47]                   // 00000000C9A0: D1000005 00BA2510
	v_perm_b32 v105, v5, v4, s52                               // 00000000C9A8: D1ED0069 00D20905
	v_cmp_u_f32_e64 s[46:47], v120, v120                       // 00000000C9B0: D048002E 0002F178
	v_add3_u32 v16, v120, v19, 1                               // 00000000C9B8: D1FF0010 02062778
	v_cndmask_b32_e64 v4, v16, v18, s[46:47]                   // 00000000C9C0: D1000004 00BA2510
	v_cmp_u_f32_e64 s[46:47], v121, v121                       // 00000000C9C8: D048002E 0002F379
	v_add3_u32 v16, v121, v19, 1                               // 00000000C9D0: D1FF0010 02062779
	v_cndmask_b32_e64 v5, v16, v18, s[46:47]                   // 00000000C9D8: D1000005 00BA2510
	v_perm_b32 v106, v5, v4, s52                               // 00000000C9E0: D1ED006A 00D20905
	v_cmp_u_f32_e64 s[46:47], v122, v122                       // 00000000C9E8: D048002E 0002F57A
	v_add3_u32 v16, v122, v19, 1                               // 00000000C9F0: D1FF0010 0206277A
	v_cndmask_b32_e64 v4, v16, v18, s[46:47]                   // 00000000C9F8: D1000004 00BA2510
	v_cmp_u_f32_e64 s[46:47], v123, v123                       // 00000000CA00: D048002E 0002F77B
	v_add3_u32 v16, v123, v19, 1                               // 00000000CA08: D1FF0010 0206277B
	v_cndmask_b32_e64 v5, v16, v18, s[46:47]                   // 00000000CA10: D1000005 00BA2510
	v_perm_b32 v107, v5, v4, s52                               // 00000000CA18: D1ED006B 00D20905
	v_cmp_u_f32_e64 s[46:47], v124, v124                       // 00000000CA20: D048002E 0002F97C
	v_add3_u32 v16, v124, v19, 1                               // 00000000CA28: D1FF0010 0206277C
	v_cndmask_b32_e64 v4, v16, v18, s[46:47]                   // 00000000CA30: D1000004 00BA2510
	v_cmp_u_f32_e64 s[46:47], v125, v125                       // 00000000CA38: D048002E 0002FB7D
	v_add3_u32 v16, v125, v19, 1                               // 00000000CA40: D1FF0010 0206277D
	v_cndmask_b32_e64 v5, v16, v18, s[46:47]                   // 00000000CA48: D1000005 00BA2510
	v_perm_b32 v108, v5, v4, s52                               // 00000000CA50: D1ED006C 00D20905
	v_cmp_u_f32_e64 s[46:47], v126, v126                       // 00000000CA58: D048002E 0002FD7E
	v_add3_u32 v16, v126, v19, 1                               // 00000000CA60: D1FF0010 0206277E
	v_cndmask_b32_e64 v4, v16, v18, s[46:47]                   // 00000000CA68: D1000004 00BA2510
	v_cmp_u_f32_e64 s[46:47], v127, v127                       // 00000000CA70: D048002E 0002FF7F
	v_add3_u32 v16, v127, v19, 1                               // 00000000CA78: D1FF0010 0206277F
	v_cndmask_b32_e64 v5, v16, v18, s[46:47]                   // 00000000CA80: D1000005 00BA2510
	v_perm_b32 v109, v5, v4, s52                               // 00000000CA88: D1ED006D 00D20905
	v_cmp_u_f32_e64 s[46:47], v128, v128                       // 00000000CA90: D048002E 00030180
	v_add3_u32 v16, v128, v19, 1                               // 00000000CA98: D1FF0010 02062780
	v_cndmask_b32_e64 v4, v16, v18, s[46:47]                   // 00000000CAA0: D1000004 00BA2510
	v_cmp_u_f32_e64 s[46:47], v129, v129                       // 00000000CAA8: D048002E 00030381
	v_add3_u32 v16, v129, v19, 1                               // 00000000CAB0: D1FF0010 02062781
	v_cndmask_b32_e64 v5, v16, v18, s[46:47]                   // 00000000CAB8: D1000005 00BA2510
	v_perm_b32 v110, v5, v4, s52                               // 00000000CAC0: D1ED006E 00D20905
	v_cmp_u_f32_e64 s[46:47], v130, v130                       // 00000000CAC8: D048002E 00030582
	v_add3_u32 v16, v130, v19, 1                               // 00000000CAD0: D1FF0010 02062782
	v_cndmask_b32_e64 v4, v16, v18, s[46:47]                   // 00000000CAD8: D1000004 00BA2510
	v_cmp_u_f32_e64 s[46:47], v131, v131                       // 00000000CAE0: D048002E 00030783
	v_add3_u32 v16, v131, v19, 1                               // 00000000CAE8: D1FF0010 02062783
	v_cndmask_b32_e64 v5, v16, v18, s[46:47]                   // 00000000CAF0: D1000005 00BA2510
	v_perm_b32 v111, v5, v4, s52                               // 00000000CAF8: D1ED006F 00D20905
	ds_write_b64 v20, v[92:93]                                 // 00000000CB00: D89A0000 00005C14
	ds_write_b64 v20, v[94:95] offset:2176                     // 00000000CB08: D89A0880 00005E14
	ds_write_b64 v20, v[96:97] offset:4352                     // 00000000CB10: D89A1100 00006014
	ds_write_b64 v20, v[98:99] offset:6528                     // 00000000CB18: D89A1980 00006214
	ds_write_b64 v20, v[100:101] offset:8704                   // 00000000CB20: D89A2200 00006414
	ds_write_b64 v20, v[102:103] offset:10880                  // 00000000CB28: D89A2A80 00006614
	ds_write_b64 v20, v[104:105] offset:13056                  // 00000000CB30: D89A3300 00006814
	ds_write_b64 v20, v[106:107] offset:15232                  // 00000000CB38: D89A3B80 00006A14
	ds_write_b64 v20, v[108:109] offset:17408                  // 00000000CB40: D89A4400 00006C14
	ds_write_b64 v20, v[110:111] offset:19584                  // 00000000CB48: D89A4C80 00006E14
	v_lshrrev_b32_e32 v4, 5, v0                                // 00000000CB50: 20080085
	v_xor_b32_e32 v5, 1, v4                                    // 00000000CB54: 2A0A0881
	s_mul_i32 s60, s65, 2                                      // 00000000CB58: 923C8241
	s_cmp_eq_u32 s88, 0                                        // 00000000CB5C: BF068058
	s_cselect_b32 s61, 1, 4                                    // 00000000CB60: 853D8481
	s_mul_i32 s60, s61, s60                                    // 00000000CB64: 923C3C3D
	v_readlane_b32 s82, v3, 0                                  // 00000000CB68: D2890052 00010103
	s_lshr_b32 s61, s82, 24                                    // 00000000CB70: 8F3D9852
	s_and_b32 s82, s82, 0xffffff                               // 00000000CB74: 8652FF52 00FFFFFF
	s_mul_i32 s82, s82, s71                                    // 00000000CB7C: 92524752
	s_mul_i32 s61, s60, s61                                    // 00000000CB80: 923D3D3C
	s_add_u32 s82, s82, s61                                    // 00000000CB84: 80523D52
	v_mul_lo_u32 v6, v5, s82                                   // 00000000CB88: D2850006 0000A505
	v_readlane_b32 s82, v3, 1                                  // 00000000CB90: D2890052 00010303
	s_lshr_b32 s61, s82, 24                                    // 00000000CB98: 8F3D9852
	s_and_b32 s82, s82, 0xffffff                               // 00000000CB9C: 8652FF52 00FFFFFF
	s_mul_i32 s82, s82, s71                                    // 00000000CBA4: 92524752
	s_mul_i32 s61, s60, s61                                    // 00000000CBA8: 923D3D3C
	s_add_u32 s82, s82, s61                                    // 00000000CBAC: 80523D52
	v_mul_lo_u32 v7, v4, s82                                   // 00000000CBB0: D2850007 0000A504
	v_add_u32_e32 v70, v6, v7                                  // 00000000CBB8: 688C0F06
	v_readlane_b32 s82, v3, 2                                  // 00000000CBBC: D2890052 00010503
	s_lshr_b32 s61, s82, 24                                    // 00000000CBC4: 8F3D9852
	s_and_b32 s82, s82, 0xffffff                               // 00000000CBC8: 8652FF52 00FFFFFF
	s_mul_i32 s82, s82, s71                                    // 00000000CBD0: 92524752
	s_mul_i32 s61, s60, s61                                    // 00000000CBD4: 923D3D3C
	s_add_u32 s82, s82, s61                                    // 00000000CBD8: 80523D52
	v_mul_lo_u32 v6, v5, s82                                   // 00000000CBDC: D2850006 0000A505
	v_readlane_b32 s82, v3, 3                                  // 00000000CBE4: D2890052 00010703
	s_lshr_b32 s61, s82, 24                                    // 00000000CBEC: 8F3D9852
	s_and_b32 s82, s82, 0xffffff                               // 00000000CBF0: 8652FF52 00FFFFFF
	s_mul_i32 s82, s82, s71                                    // 00000000CBF8: 92524752
	s_mul_i32 s61, s60, s61                                    // 00000000CBFC: 923D3D3C
	s_add_u32 s82, s82, s61                                    // 00000000CC00: 80523D52
	v_mul_lo_u32 v7, v4, s82                                   // 00000000CC04: D2850007 0000A504
	v_add_u32_e32 v71, v6, v7                                  // 00000000CC0C: 688E0F06
	v_readlane_b32 s82, v3, 4                                  // 00000000CC10: D2890052 00010903
	s_lshr_b32 s61, s82, 24                                    // 00000000CC18: 8F3D9852
	s_and_b32 s82, s82, 0xffffff                               // 00000000CC1C: 8652FF52 00FFFFFF
	s_mul_i32 s82, s82, s71                                    // 00000000CC24: 92524752
	s_mul_i32 s61, s60, s61                                    // 00000000CC28: 923D3D3C
	s_add_u32 s82, s82, s61                                    // 00000000CC2C: 80523D52
	v_mul_lo_u32 v6, v5, s82                                   // 00000000CC30: D2850006 0000A505
	v_readlane_b32 s82, v3, 5                                  // 00000000CC38: D2890052 00010B03
	s_lshr_b32 s61, s82, 24                                    // 00000000CC40: 8F3D9852
	s_and_b32 s82, s82, 0xffffff                               // 00000000CC44: 8652FF52 00FFFFFF
	s_mul_i32 s82, s82, s71                                    // 00000000CC4C: 92524752
	s_mul_i32 s61, s60, s61                                    // 00000000CC50: 923D3D3C
	s_add_u32 s82, s82, s61                                    // 00000000CC54: 80523D52
	v_mul_lo_u32 v7, v4, s82                                   // 00000000CC58: D2850007 0000A504
	v_add_u32_e32 v72, v6, v7                                  // 00000000CC60: 68900F06
	v_readlane_b32 s82, v3, 6                                  // 00000000CC64: D2890052 00010D03
	s_lshr_b32 s61, s82, 24                                    // 00000000CC6C: 8F3D9852
	s_and_b32 s82, s82, 0xffffff                               // 00000000CC70: 8652FF52 00FFFFFF
	s_mul_i32 s82, s82, s71                                    // 00000000CC78: 92524752
	s_mul_i32 s61, s60, s61                                    // 00000000CC7C: 923D3D3C
	s_add_u32 s82, s82, s61                                    // 00000000CC80: 80523D52
	v_mul_lo_u32 v6, v5, s82                                   // 00000000CC84: D2850006 0000A505
	v_readlane_b32 s82, v3, 7                                  // 00000000CC8C: D2890052 00010F03
	s_lshr_b32 s61, s82, 24                                    // 00000000CC94: 8F3D9852
	s_and_b32 s82, s82, 0xffffff                               // 00000000CC98: 8652FF52 00FFFFFF
	s_mul_i32 s82, s82, s71                                    // 00000000CCA0: 92524752
	s_mul_i32 s61, s60, s61                                    // 00000000CCA4: 923D3D3C
	s_add_u32 s82, s82, s61                                    // 00000000CCA8: 80523D52
	v_mul_lo_u32 v7, v4, s82                                   // 00000000CCAC: D2850007 0000A504
	v_add_u32_e32 v73, v6, v7                                  // 00000000CCB4: 68920F06
	v_readlane_b32 s82, v3, 8                                  // 00000000CCB8: D2890052 00011103
	s_lshr_b32 s61, s82, 24                                    // 00000000CCC0: 8F3D9852
	s_and_b32 s82, s82, 0xffffff                               // 00000000CCC4: 8652FF52 00FFFFFF
	s_mul_i32 s82, s82, s71                                    // 00000000CCCC: 92524752
	s_mul_i32 s61, s60, s61                                    // 00000000CCD0: 923D3D3C
	s_add_u32 s82, s82, s61                                    // 00000000CCD4: 80523D52
	v_mul_lo_u32 v6, v5, s82                                   // 00000000CCD8: D2850006 0000A505
	v_readlane_b32 s82, v3, 9                                  // 00000000CCE0: D2890052 00011303
	s_lshr_b32 s61, s82, 24                                    // 00000000CCE8: 8F3D9852
	s_and_b32 s82, s82, 0xffffff                               // 00000000CCEC: 8652FF52 00FFFFFF
	s_mul_i32 s82, s82, s71                                    // 00000000CCF4: 92524752
	s_mul_i32 s61, s60, s61                                    // 00000000CCF8: 923D3D3C
	s_add_u32 s82, s82, s61                                    // 00000000CCFC: 80523D52
	v_mul_lo_u32 v7, v4, s82                                   // 00000000CD00: D2850007 0000A504
	v_add_u32_e32 v74, v6, v7                                  // 00000000CD08: 68940F06
	v_readlane_b32 s82, v3, 10                                 // 00000000CD0C: D2890052 00011503
	s_lshr_b32 s61, s82, 24                                    // 00000000CD14: 8F3D9852
	s_and_b32 s82, s82, 0xffffff                               // 00000000CD18: 8652FF52 00FFFFFF
	s_mul_i32 s82, s82, s71                                    // 00000000CD20: 92524752
	s_mul_i32 s61, s60, s61                                    // 00000000CD24: 923D3D3C
	s_add_u32 s82, s82, s61                                    // 00000000CD28: 80523D52
	v_mul_lo_u32 v6, v5, s82                                   // 00000000CD2C: D2850006 0000A505
	v_readlane_b32 s82, v3, 11                                 // 00000000CD34: D2890052 00011703
	s_lshr_b32 s61, s82, 24                                    // 00000000CD3C: 8F3D9852
	s_and_b32 s82, s82, 0xffffff                               // 00000000CD40: 8652FF52 00FFFFFF
	s_mul_i32 s82, s82, s71                                    // 00000000CD48: 92524752
	s_mul_i32 s61, s60, s61                                    // 00000000CD4C: 923D3D3C
	s_add_u32 s82, s82, s61                                    // 00000000CD50: 80523D52
	v_mul_lo_u32 v7, v4, s82                                   // 00000000CD54: D2850007 0000A504
	v_add_u32_e32 v75, v6, v7                                  // 00000000CD5C: 68960F06
	v_readlane_b32 s82, v3, 12                                 // 00000000CD60: D2890052 00011903
	s_lshr_b32 s61, s82, 24                                    // 00000000CD68: 8F3D9852
	s_and_b32 s82, s82, 0xffffff                               // 00000000CD6C: 8652FF52 00FFFFFF
	s_mul_i32 s82, s82, s71                                    // 00000000CD74: 92524752
	s_mul_i32 s61, s60, s61                                    // 00000000CD78: 923D3D3C
	s_add_u32 s82, s82, s61                                    // 00000000CD7C: 80523D52
	v_mul_lo_u32 v6, v5, s82                                   // 00000000CD80: D2850006 0000A505
	v_readlane_b32 s82, v3, 13                                 // 00000000CD88: D2890052 00011B03
	s_lshr_b32 s61, s82, 24                                    // 00000000CD90: 8F3D9852
	s_and_b32 s82, s82, 0xffffff                               // 00000000CD94: 8652FF52 00FFFFFF
	s_mul_i32 s82, s82, s71                                    // 00000000CD9C: 92524752
	s_mul_i32 s61, s60, s61                                    // 00000000CDA0: 923D3D3C
	s_add_u32 s82, s82, s61                                    // 00000000CDA4: 80523D52
	v_mul_lo_u32 v7, v4, s82                                   // 00000000CDA8: D2850007 0000A504
	v_add_u32_e32 v76, v6, v7                                  // 00000000CDB0: 68980F06
	v_readlane_b32 s82, v3, 14                                 // 00000000CDB4: D2890052 00011D03
	s_lshr_b32 s61, s82, 24                                    // 00000000CDBC: 8F3D9852
	s_and_b32 s82, s82, 0xffffff                               // 00000000CDC0: 8652FF52 00FFFFFF
	s_mul_i32 s82, s82, s71                                    // 00000000CDC8: 92524752
	s_mul_i32 s61, s60, s61                                    // 00000000CDCC: 923D3D3C
	s_add_u32 s82, s82, s61                                    // 00000000CDD0: 80523D52
	v_mul_lo_u32 v6, v5, s82                                   // 00000000CDD4: D2850006 0000A505
	v_readlane_b32 s82, v3, 15                                 // 00000000CDDC: D2890052 00011F03
	s_lshr_b32 s61, s82, 24                                    // 00000000CDE4: 8F3D9852
	s_and_b32 s82, s82, 0xffffff                               // 00000000CDE8: 8652FF52 00FFFFFF
	s_mul_i32 s82, s82, s71                                    // 00000000CDF0: 92524752
	s_mul_i32 s61, s60, s61                                    // 00000000CDF4: 923D3D3C
	s_add_u32 s82, s82, s61                                    // 00000000CDF8: 80523D52
	v_mul_lo_u32 v7, v4, s82                                   // 00000000CDFC: D2850007 0000A504
	v_add_u32_e32 v77, v6, v7                                  // 00000000CE04: 689A0F06
	v_readlane_b32 s82, v3, 16                                 // 00000000CE08: D2890052 00012103
	s_lshr_b32 s61, s82, 24                                    // 00000000CE10: 8F3D9852
	s_and_b32 s82, s82, 0xffffff                               // 00000000CE14: 8652FF52 00FFFFFF
	s_mul_i32 s82, s82, s71                                    // 00000000CE1C: 92524752
	s_mul_i32 s61, s60, s61                                    // 00000000CE20: 923D3D3C
	s_add_u32 s82, s82, s61                                    // 00000000CE24: 80523D52
	v_mul_lo_u32 v6, v5, s82                                   // 00000000CE28: D2850006 0000A505
	v_readlane_b32 s82, v3, 17                                 // 00000000CE30: D2890052 00012303
	s_lshr_b32 s61, s82, 24                                    // 00000000CE38: 8F3D9852
	s_and_b32 s82, s82, 0xffffff                               // 00000000CE3C: 8652FF52 00FFFFFF
	s_mul_i32 s82, s82, s71                                    // 00000000CE44: 92524752
	s_mul_i32 s61, s60, s61                                    // 00000000CE48: 923D3D3C
	s_add_u32 s82, s82, s61                                    // 00000000CE4C: 80523D52
	v_mul_lo_u32 v7, v4, s82                                   // 00000000CE50: D2850007 0000A504
	v_add_u32_e32 v78, v6, v7                                  // 00000000CE58: 689C0F06
	v_readlane_b32 s82, v3, 18                                 // 00000000CE5C: D2890052 00012503
	s_lshr_b32 s61, s82, 24                                    // 00000000CE64: 8F3D9852
	s_and_b32 s82, s82, 0xffffff                               // 00000000CE68: 8652FF52 00FFFFFF
	s_mul_i32 s82, s82, s71                                    // 00000000CE70: 92524752
	s_mul_i32 s61, s60, s61                                    // 00000000CE74: 923D3D3C
	s_add_u32 s82, s82, s61                                    // 00000000CE78: 80523D52
	v_mul_lo_u32 v6, v5, s82                                   // 00000000CE7C: D2850006 0000A505
	v_readlane_b32 s82, v3, 19                                 // 00000000CE84: D2890052 00012703
	s_lshr_b32 s61, s82, 24                                    // 00000000CE8C: 8F3D9852
	s_and_b32 s82, s82, 0xffffff                               // 00000000CE90: 8652FF52 00FFFFFF
	s_mul_i32 s82, s82, s71                                    // 00000000CE98: 92524752
	s_mul_i32 s61, s60, s61                                    // 00000000CE9C: 923D3D3C
	s_add_u32 s82, s82, s61                                    // 00000000CEA0: 80523D52
	v_mul_lo_u32 v7, v4, s82                                   // 00000000CEA4: D2850007 0000A504
	v_add_u32_e32 v79, v6, v7                                  // 00000000CEAC: 689E0F06
	v_readlane_b32 s82, v3, 20                                 // 00000000CEB0: D2890052 00012903
	s_lshr_b32 s61, s82, 24                                    // 00000000CEB8: 8F3D9852
	s_and_b32 s82, s82, 0xffffff                               // 00000000CEBC: 8652FF52 00FFFFFF
	s_mul_i32 s82, s82, s71                                    // 00000000CEC4: 92524752
	s_mul_i32 s61, s60, s61                                    // 00000000CEC8: 923D3D3C
	s_add_u32 s82, s82, s61                                    // 00000000CECC: 80523D52
	v_mul_lo_u32 v6, v5, s82                                   // 00000000CED0: D2850006 0000A505
	v_readlane_b32 s82, v3, 21                                 // 00000000CED8: D2890052 00012B03
	s_lshr_b32 s61, s82, 24                                    // 00000000CEE0: 8F3D9852
	s_and_b32 s82, s82, 0xffffff                               // 00000000CEE4: 8652FF52 00FFFFFF
	s_mul_i32 s82, s82, s71                                    // 00000000CEEC: 92524752
	s_mul_i32 s61, s60, s61                                    // 00000000CEF0: 923D3D3C
	s_add_u32 s82, s82, s61                                    // 00000000CEF4: 80523D52
	v_mul_lo_u32 v7, v4, s82                                   // 00000000CEF8: D2850007 0000A504
	v_add_u32_e32 v80, v6, v7                                  // 00000000CF00: 68A00F06
	v_readlane_b32 s82, v3, 22                                 // 00000000CF04: D2890052 00012D03
	s_lshr_b32 s61, s82, 24                                    // 00000000CF0C: 8F3D9852
	s_and_b32 s82, s82, 0xffffff                               // 00000000CF10: 8652FF52 00FFFFFF
	s_mul_i32 s82, s82, s71                                    // 00000000CF18: 92524752
	s_mul_i32 s61, s60, s61                                    // 00000000CF1C: 923D3D3C
	s_add_u32 s82, s82, s61                                    // 00000000CF20: 80523D52
	v_mul_lo_u32 v6, v5, s82                                   // 00000000CF24: D2850006 0000A505
	v_readlane_b32 s82, v3, 23                                 // 00000000CF2C: D2890052 00012F03
	s_lshr_b32 s61, s82, 24                                    // 00000000CF34: 8F3D9852
	s_and_b32 s82, s82, 0xffffff                               // 00000000CF38: 8652FF52 00FFFFFF
	s_mul_i32 s82, s82, s71                                    // 00000000CF40: 92524752
	s_mul_i32 s61, s60, s61                                    // 00000000CF44: 923D3D3C
	s_add_u32 s82, s82, s61                                    // 00000000CF48: 80523D52
	v_mul_lo_u32 v7, v4, s82                                   // 00000000CF4C: D2850007 0000A504
	v_add_u32_e32 v81, v6, v7                                  // 00000000CF54: 68A20F06
	v_readlane_b32 s82, v3, 24                                 // 00000000CF58: D2890052 00013103
	s_lshr_b32 s61, s82, 24                                    // 00000000CF60: 8F3D9852
	s_and_b32 s82, s82, 0xffffff                               // 00000000CF64: 8652FF52 00FFFFFF
	s_mul_i32 s82, s82, s71                                    // 00000000CF6C: 92524752
	s_mul_i32 s61, s60, s61                                    // 00000000CF70: 923D3D3C
	s_add_u32 s82, s82, s61                                    // 00000000CF74: 80523D52
	v_mul_lo_u32 v6, v5, s82                                   // 00000000CF78: D2850006 0000A505
	v_readlane_b32 s82, v3, 25                                 // 00000000CF80: D2890052 00013303
	s_lshr_b32 s61, s82, 24                                    // 00000000CF88: 8F3D9852
	s_and_b32 s82, s82, 0xffffff                               // 00000000CF8C: 8652FF52 00FFFFFF
	s_mul_i32 s82, s82, s71                                    // 00000000CF94: 92524752
	s_mul_i32 s61, s60, s61                                    // 00000000CF98: 923D3D3C
	s_add_u32 s82, s82, s61                                    // 00000000CF9C: 80523D52
	v_mul_lo_u32 v7, v4, s82                                   // 00000000CFA0: D2850007 0000A504
	v_add_u32_e32 v82, v6, v7                                  // 00000000CFA8: 68A40F06
	v_readlane_b32 s82, v3, 26                                 // 00000000CFAC: D2890052 00013503
	s_lshr_b32 s61, s82, 24                                    // 00000000CFB4: 8F3D9852
	s_and_b32 s82, s82, 0xffffff                               // 00000000CFB8: 8652FF52 00FFFFFF
	s_mul_i32 s82, s82, s71                                    // 00000000CFC0: 92524752
	s_mul_i32 s61, s60, s61                                    // 00000000CFC4: 923D3D3C
	s_add_u32 s82, s82, s61                                    // 00000000CFC8: 80523D52
	v_mul_lo_u32 v6, v5, s82                                   // 00000000CFCC: D2850006 0000A505
	v_readlane_b32 s82, v3, 27                                 // 00000000CFD4: D2890052 00013703
	s_lshr_b32 s61, s82, 24                                    // 00000000CFDC: 8F3D9852
	s_and_b32 s82, s82, 0xffffff                               // 00000000CFE0: 8652FF52 00FFFFFF
	s_mul_i32 s82, s82, s71                                    // 00000000CFE8: 92524752
	s_mul_i32 s61, s60, s61                                    // 00000000CFEC: 923D3D3C
	s_add_u32 s82, s82, s61                                    // 00000000CFF0: 80523D52
	v_mul_lo_u32 v7, v4, s82                                   // 00000000CFF4: D2850007 0000A504
	v_add_u32_e32 v83, v6, v7                                  // 00000000CFFC: 68A60F06
	v_readlane_b32 s82, v3, 28                                 // 00000000D000: D2890052 00013903
	s_lshr_b32 s61, s82, 24                                    // 00000000D008: 8F3D9852
	s_and_b32 s82, s82, 0xffffff                               // 00000000D00C: 8652FF52 00FFFFFF
	s_mul_i32 s82, s82, s71                                    // 00000000D014: 92524752
	s_mul_i32 s61, s60, s61                                    // 00000000D018: 923D3D3C
	s_add_u32 s82, s82, s61                                    // 00000000D01C: 80523D52
	v_mul_lo_u32 v6, v5, s82                                   // 00000000D020: D2850006 0000A505
	v_readlane_b32 s82, v3, 29                                 // 00000000D028: D2890052 00013B03
	s_lshr_b32 s61, s82, 24                                    // 00000000D030: 8F3D9852
	s_and_b32 s82, s82, 0xffffff                               // 00000000D034: 8652FF52 00FFFFFF
	s_mul_i32 s82, s82, s71                                    // 00000000D03C: 92524752
	s_mul_i32 s61, s60, s61                                    // 00000000D040: 923D3D3C
	s_add_u32 s82, s82, s61                                    // 00000000D044: 80523D52
	v_mul_lo_u32 v7, v4, s82                                   // 00000000D048: D2850007 0000A504
	v_add_u32_e32 v84, v6, v7                                  // 00000000D050: 68A80F06
	v_readlane_b32 s82, v3, 30                                 // 00000000D054: D2890052 00013D03
	s_lshr_b32 s61, s82, 24                                    // 00000000D05C: 8F3D9852
	s_and_b32 s82, s82, 0xffffff                               // 00000000D060: 8652FF52 00FFFFFF
	s_mul_i32 s82, s82, s71                                    // 00000000D068: 92524752
	s_mul_i32 s61, s60, s61                                    // 00000000D06C: 923D3D3C
	s_add_u32 s82, s82, s61                                    // 00000000D070: 80523D52
	v_mul_lo_u32 v6, v5, s82                                   // 00000000D074: D2850006 0000A505
	v_readlane_b32 s82, v3, 31                                 // 00000000D07C: D2890052 00013F03
	s_lshr_b32 s61, s82, 24                                    // 00000000D084: 8F3D9852
	s_and_b32 s82, s82, 0xffffff                               // 00000000D088: 8652FF52 00FFFFFF
	s_mul_i32 s82, s82, s71                                    // 00000000D090: 92524752
	s_mul_i32 s61, s60, s61                                    // 00000000D094: 923D3D3C
	s_add_u32 s82, s82, s61                                    // 00000000D098: 80523D52
	v_mul_lo_u32 v7, v4, s82                                   // 00000000D09C: D2850007 0000A504
	v_add_u32_e32 v85, v6, v7                                  // 00000000D0A4: 68AA0F06
	v_readlane_b32 s82, v3, 32                                 // 00000000D0A8: D2890052 00014103
	s_lshr_b32 s61, s82, 24                                    // 00000000D0B0: 8F3D9852
	s_and_b32 s82, s82, 0xffffff                               // 00000000D0B4: 8652FF52 00FFFFFF
	s_mul_i32 s82, s82, s71                                    // 00000000D0BC: 92524752
	s_mul_i32 s61, s60, s61                                    // 00000000D0C0: 923D3D3C
	s_add_u32 s82, s82, s61                                    // 00000000D0C4: 80523D52
	v_mul_lo_u32 v6, v5, s82                                   // 00000000D0C8: D2850006 0000A505
	v_readlane_b32 s82, v3, 33                                 // 00000000D0D0: D2890052 00014303
	s_lshr_b32 s61, s82, 24                                    // 00000000D0D8: 8F3D9852
	s_and_b32 s82, s82, 0xffffff                               // 00000000D0DC: 8652FF52 00FFFFFF
	s_mul_i32 s82, s82, s71                                    // 00000000D0E4: 92524752
	s_mul_i32 s61, s60, s61                                    // 00000000D0E8: 923D3D3C
	s_add_u32 s82, s82, s61                                    // 00000000D0EC: 80523D52
	v_mul_lo_u32 v7, v4, s82                                   // 00000000D0F0: D2850007 0000A504
	v_add_u32_e32 v86, v6, v7                                  // 00000000D0F8: 68AC0F06
	v_readlane_b32 s82, v3, 34                                 // 00000000D0FC: D2890052 00014503
	s_lshr_b32 s61, s82, 24                                    // 00000000D104: 8F3D9852
	s_and_b32 s82, s82, 0xffffff                               // 00000000D108: 8652FF52 00FFFFFF
	s_mul_i32 s82, s82, s71                                    // 00000000D110: 92524752
	s_mul_i32 s61, s60, s61                                    // 00000000D114: 923D3D3C
	s_add_u32 s82, s82, s61                                    // 00000000D118: 80523D52
	v_mul_lo_u32 v6, v5, s82                                   // 00000000D11C: D2850006 0000A505
	v_readlane_b32 s82, v3, 35                                 // 00000000D124: D2890052 00014703
	s_lshr_b32 s61, s82, 24                                    // 00000000D12C: 8F3D9852
	s_and_b32 s82, s82, 0xffffff                               // 00000000D130: 8652FF52 00FFFFFF
	s_mul_i32 s82, s82, s71                                    // 00000000D138: 92524752
	s_mul_i32 s61, s60, s61                                    // 00000000D13C: 923D3D3C
	s_add_u32 s82, s82, s61                                    // 00000000D140: 80523D52
	v_mul_lo_u32 v7, v4, s82                                   // 00000000D144: D2850007 0000A504
	v_add_u32_e32 v87, v6, v7                                  // 00000000D14C: 68AE0F06
	v_readlane_b32 s82, v3, 36                                 // 00000000D150: D2890052 00014903
	s_lshr_b32 s61, s82, 24                                    // 00000000D158: 8F3D9852
	s_and_b32 s82, s82, 0xffffff                               // 00000000D15C: 8652FF52 00FFFFFF
	s_mul_i32 s82, s82, s71                                    // 00000000D164: 92524752
	s_mul_i32 s61, s60, s61                                    // 00000000D168: 923D3D3C
	s_add_u32 s82, s82, s61                                    // 00000000D16C: 80523D52
	v_mul_lo_u32 v6, v5, s82                                   // 00000000D170: D2850006 0000A505
	v_readlane_b32 s82, v3, 37                                 // 00000000D178: D2890052 00014B03
	s_lshr_b32 s61, s82, 24                                    // 00000000D180: 8F3D9852
	s_and_b32 s82, s82, 0xffffff                               // 00000000D184: 8652FF52 00FFFFFF
	s_mul_i32 s82, s82, s71                                    // 00000000D18C: 92524752
	s_mul_i32 s61, s60, s61                                    // 00000000D190: 923D3D3C
	s_add_u32 s82, s82, s61                                    // 00000000D194: 80523D52
	v_mul_lo_u32 v7, v4, s82                                   // 00000000D198: D2850007 0000A504
	v_add_u32_e32 v88, v6, v7                                  // 00000000D1A0: 68B00F06
	v_readlane_b32 s82, v3, 38                                 // 00000000D1A4: D2890052 00014D03
	s_lshr_b32 s61, s82, 24                                    // 00000000D1AC: 8F3D9852
	s_and_b32 s82, s82, 0xffffff                               // 00000000D1B0: 8652FF52 00FFFFFF
	s_mul_i32 s82, s82, s71                                    // 00000000D1B8: 92524752
	s_mul_i32 s61, s60, s61                                    // 00000000D1BC: 923D3D3C
	s_add_u32 s82, s82, s61                                    // 00000000D1C0: 80523D52
	v_mul_lo_u32 v6, v5, s82                                   // 00000000D1C4: D2850006 0000A505
	v_readlane_b32 s82, v3, 39                                 // 00000000D1CC: D2890052 00014F03
	s_lshr_b32 s61, s82, 24                                    // 00000000D1D4: 8F3D9852
	s_and_b32 s82, s82, 0xffffff                               // 00000000D1D8: 8652FF52 00FFFFFF
	s_mul_i32 s82, s82, s71                                    // 00000000D1E0: 92524752
	s_mul_i32 s61, s60, s61                                    // 00000000D1E4: 923D3D3C
	s_add_u32 s82, s82, s61                                    // 00000000D1E8: 80523D52
	v_mul_lo_u32 v7, v4, s82                                   // 00000000D1EC: D2850007 0000A504
	v_add_u32_e32 v89, v6, v7                                  // 00000000D1F4: 68B20F06
	v_and_b32_e32 v4, 31, v0                                   // 00000000D1F8: 2608009F
	v_lshrrev_b32_e32 v4, 1, v4                                // 00000000D1FC: 20080881
	s_cmp_eq_u32 s88, 0                                        // 00000000D200: BF068058
	s_cselect_b32 s61, 2, 4                                    // 00000000D204: 853D8482
	v_mul_lo_u32 v4, v4, s61                                   // 00000000D208: D2850004 00007B04
	v_and_b32_e64 v5, v0, 1                                    // 00000000D210: D1130005 00010300
	v_add_u32_e32 v4, v4, v5                                   // 00000000D218: 68080B04
	v_lshlrev_b32_e32 v4, 2, v4                                // 00000000D21C: 24080882
	v_add_u32_e32 v70, v70, v4                                 // 00000000D220: 688C0946
	v_add_u32_e32 v71, v71, v4                                 // 00000000D224: 688E0947
	v_add_u32_e32 v72, v72, v4                                 // 00000000D228: 68900948
	v_add_u32_e32 v73, v73, v4                                 // 00000000D22C: 68920949
	v_add_u32_e32 v74, v74, v4                                 // 00000000D230: 6894094A
	v_add_u32_e32 v75, v75, v4                                 // 00000000D234: 6896094B
	v_add_u32_e32 v76, v76, v4                                 // 00000000D238: 6898094C
	v_add_u32_e32 v77, v77, v4                                 // 00000000D23C: 689A094D
	v_add_u32_e32 v78, v78, v4                                 // 00000000D240: 689C094E
	v_add_u32_e32 v79, v79, v4                                 // 00000000D244: 689E094F
	v_add_u32_e32 v80, v80, v4                                 // 00000000D248: 68A00950
	v_add_u32_e32 v81, v81, v4                                 // 00000000D24C: 68A20951
	v_add_u32_e32 v82, v82, v4                                 // 00000000D250: 68A40952
	v_add_u32_e32 v83, v83, v4                                 // 00000000D254: 68A60953
	v_add_u32_e32 v84, v84, v4                                 // 00000000D258: 68A80954
	v_add_u32_e32 v85, v85, v4                                 // 00000000D25C: 68AA0955
	v_add_u32_e32 v86, v86, v4                                 // 00000000D260: 68AC0956
	v_add_u32_e32 v87, v87, v4                                 // 00000000D264: 68AE0957
	v_add_u32_e32 v88, v88, v4                                 // 00000000D268: 68B00958
	v_add_u32_e32 v89, v89, v4                                 // 00000000D26C: 68B20959
	s_waitcnt lgkmcnt(0)                                       // 00000000D270: BF8CC07F
	s_barrier                                                  // 00000000D274: BF8A0000
	ds_read_b32 v92, v21                                       // 00000000D278: D86C0000 5C000015
	ds_read_b32 v93, v21 offset:64                             // 00000000D280: D86C0040 5D000015
	ds_read_b32 v94, v21 offset:2176                           // 00000000D288: D86C0880 5E000015
	ds_read_b32 v95, v21 offset:2240                           // 00000000D290: D86C08C0 5F000015
	ds_read_b32 v96, v21 offset:4352                           // 00000000D298: D86C1100 60000015
	ds_read_b32 v97, v21 offset:4416                           // 00000000D2A0: D86C1140 61000015
	ds_read_b32 v98, v21 offset:6528                           // 00000000D2A8: D86C1980 62000015
	ds_read_b32 v99, v21 offset:6592                           // 00000000D2B0: D86C19C0 63000015
	ds_read_b32 v100, v21 offset:8704                          // 00000000D2B8: D86C2200 64000015
	ds_read_b32 v101, v21 offset:8768                          // 00000000D2C0: D86C2240 65000015
	ds_read_b32 v102, v21 offset:10880                         // 00000000D2C8: D86C2A80 66000015
	ds_read_b32 v103, v21 offset:10944                         // 00000000D2D0: D86C2AC0 67000015
	ds_read_b32 v104, v21 offset:13056                         // 00000000D2D8: D86C3300 68000015
	ds_read_b32 v105, v21 offset:13120                         // 00000000D2E0: D86C3340 69000015
	ds_read_b32 v106, v21 offset:15232                         // 00000000D2E8: D86C3B80 6A000015
	ds_read_b32 v107, v21 offset:15296                         // 00000000D2F0: D86C3BC0 6B000015
	ds_read_b32 v108, v21 offset:17408                         // 00000000D2F8: D86C4400 6C000015
	ds_read_b32 v109, v21 offset:17472                         // 00000000D300: D86C4440 6D000015
	ds_read_b32 v110, v21 offset:19584                         // 00000000D308: D86C4C80 6E000015
	ds_read_b32 v111, v21 offset:19648                         // 00000000D310: D86C4CC0 6F000015
	s_waitcnt lgkmcnt(0)                                       // 00000000D318: BF8CC07F
	s_mov_b32 s36, -1                                          // 00000000D31C: BEA400C1
	s_mov_b32 s37, -1                                          // 00000000D320: BEA500C1
	v_mov_b32_e32 v7, 0                                        // 00000000D324: 7E0E0280
	s_or_b32 s9, s9, 0x40000                                   // 00000000D328: 8709FF09 00040000
	s_mov_b64 exec, s[36:37]                                   // 00000000D330: BEFE0124
	v_mov_b32_e32 v6, v70                                      // 00000000D334: 7E0C0346
	s_mov_b64 s[60:61], 0                                      // 00000000D338: BEBC0180
	v_readlane_b32 s82, v3, 0                                  // 00000000D33C: D2890052 00010103
	s_and_b32 s82, s82, 0xffffff                               // 00000000D344: 8652FF52 00FFFFFF
	s_cmp_lt_u32 s82, s66                                      // 00000000D34C: BF0A4252
	s_cselect_b32 s20, s36, s60                                // 00000000D350: 85143C24
	v_readlane_b32 s82, v3, 1                                  // 00000000D354: D2890052 00010303
	s_and_b32 s82, s82, 0xffffff                               // 00000000D35C: 8652FF52 00FFFFFF
	s_cmp_lt_u32 s82, s66                                      // 00000000D364: BF0A4252
	s_cselect_b32 s21, s36, s60                                // 00000000D368: 85153C24
	s_mov_b64 exec, s[20:21]                                   // 00000000D36C: BEFE0114
	buffer_store_dword v92, v6, s[8:11], 0 offen               // 00000000D370: E0701000 80025C06
	s_mov_b64 exec, s[36:37]                                   // 00000000D378: BEFE0124
	v_mov_b32_e32 v6, v71                                      // 00000000D37C: 7E0C0347
	s_mov_b64 s[60:61], 0                                      // 00000000D380: BEBC0180
	v_readlane_b32 s82, v3, 2                                  // 00000000D384: D2890052 00010503
	s_and_b32 s82, s82, 0xffffff                               // 00000000D38C: 8652FF52 00FFFFFF
	s_cmp_lt_u32 s82, s66                                      // 00000000D394: BF0A4252
	s_cselect_b32 s20, s36, s60                                // 00000000D398: 85143C24
	v_readlane_b32 s82, v3, 3                                  // 00000000D39C: D2890052 00010703
	s_and_b32 s82, s82, 0xffffff                               // 00000000D3A4: 8652FF52 00FFFFFF
	s_cmp_lt_u32 s82, s66                                      // 00000000D3AC: BF0A4252
	s_cselect_b32 s21, s36, s60                                // 00000000D3B0: 85153C24
	s_mov_b64 exec, s[20:21]                                   // 00000000D3B4: BEFE0114
	buffer_store_dword v93, v6, s[8:11], 0 offen               // 00000000D3B8: E0701000 80025D06
	s_mov_b64 exec, s[36:37]                                   // 00000000D3C0: BEFE0124
	v_mov_b32_e32 v6, v72                                      // 00000000D3C4: 7E0C0348
	s_mov_b64 s[60:61], 0                                      // 00000000D3C8: BEBC0180
	v_readlane_b32 s82, v3, 4                                  // 00000000D3CC: D2890052 00010903
	s_and_b32 s82, s82, 0xffffff                               // 00000000D3D4: 8652FF52 00FFFFFF
	s_cmp_lt_u32 s82, s66                                      // 00000000D3DC: BF0A4252
	s_cselect_b32 s20, s36, s60                                // 00000000D3E0: 85143C24
	v_readlane_b32 s82, v3, 5                                  // 00000000D3E4: D2890052 00010B03
	s_and_b32 s82, s82, 0xffffff                               // 00000000D3EC: 8652FF52 00FFFFFF
	s_cmp_lt_u32 s82, s66                                      // 00000000D3F4: BF0A4252
	s_cselect_b32 s21, s36, s60                                // 00000000D3F8: 85153C24
	s_mov_b64 exec, s[20:21]                                   // 00000000D3FC: BEFE0114
	buffer_store_dword v94, v6, s[8:11], 0 offen               // 00000000D400: E0701000 80025E06
	s_mov_b64 exec, s[36:37]                                   // 00000000D408: BEFE0124
	v_mov_b32_e32 v6, v73                                      // 00000000D40C: 7E0C0349
	s_mov_b64 s[60:61], 0                                      // 00000000D410: BEBC0180
	v_readlane_b32 s82, v3, 6                                  // 00000000D414: D2890052 00010D03
	s_and_b32 s82, s82, 0xffffff                               // 00000000D41C: 8652FF52 00FFFFFF
	s_cmp_lt_u32 s82, s66                                      // 00000000D424: BF0A4252
	s_cselect_b32 s20, s36, s60                                // 00000000D428: 85143C24
	v_readlane_b32 s82, v3, 7                                  // 00000000D42C: D2890052 00010F03
	s_and_b32 s82, s82, 0xffffff                               // 00000000D434: 8652FF52 00FFFFFF
	s_cmp_lt_u32 s82, s66                                      // 00000000D43C: BF0A4252
	s_cselect_b32 s21, s36, s60                                // 00000000D440: 85153C24
	s_mov_b64 exec, s[20:21]                                   // 00000000D444: BEFE0114
	buffer_store_dword v95, v6, s[8:11], 0 offen               // 00000000D448: E0701000 80025F06
	s_mov_b64 exec, s[36:37]                                   // 00000000D450: BEFE0124
	v_mov_b32_e32 v6, v74                                      // 00000000D454: 7E0C034A
	s_mov_b64 s[60:61], 0                                      // 00000000D458: BEBC0180
	v_readlane_b32 s82, v3, 8                                  // 00000000D45C: D2890052 00011103
	s_and_b32 s82, s82, 0xffffff                               // 00000000D464: 8652FF52 00FFFFFF
	s_cmp_lt_u32 s82, s66                                      // 00000000D46C: BF0A4252
	s_cselect_b32 s20, s36, s60                                // 00000000D470: 85143C24
	v_readlane_b32 s82, v3, 9                                  // 00000000D474: D2890052 00011303
	s_and_b32 s82, s82, 0xffffff                               // 00000000D47C: 8652FF52 00FFFFFF
	s_cmp_lt_u32 s82, s66                                      // 00000000D484: BF0A4252
	s_cselect_b32 s21, s36, s60                                // 00000000D488: 85153C24
	s_mov_b64 exec, s[20:21]                                   // 00000000D48C: BEFE0114
	buffer_store_dword v96, v6, s[8:11], 0 offen               // 00000000D490: E0701000 80026006
	s_mov_b64 exec, s[36:37]                                   // 00000000D498: BEFE0124
	v_mov_b32_e32 v6, v75                                      // 00000000D49C: 7E0C034B
	s_mov_b64 s[60:61], 0                                      // 00000000D4A0: BEBC0180
	v_readlane_b32 s82, v3, 10                                 // 00000000D4A4: D2890052 00011503
	s_and_b32 s82, s82, 0xffffff                               // 00000000D4AC: 8652FF52 00FFFFFF
	s_cmp_lt_u32 s82, s66                                      // 00000000D4B4: BF0A4252
	s_cselect_b32 s20, s36, s60                                // 00000000D4B8: 85143C24
	v_readlane_b32 s82, v3, 11                                 // 00000000D4BC: D2890052 00011703
	s_and_b32 s82, s82, 0xffffff                               // 00000000D4C4: 8652FF52 00FFFFFF
	s_cmp_lt_u32 s82, s66                                      // 00000000D4CC: BF0A4252
	s_cselect_b32 s21, s36, s60                                // 00000000D4D0: 85153C24
	s_mov_b64 exec, s[20:21]                                   // 00000000D4D4: BEFE0114
	buffer_store_dword v97, v6, s[8:11], 0 offen               // 00000000D4D8: E0701000 80026106
	s_mov_b64 exec, s[36:37]                                   // 00000000D4E0: BEFE0124
	v_mov_b32_e32 v6, v76                                      // 00000000D4E4: 7E0C034C
	s_mov_b64 s[60:61], 0                                      // 00000000D4E8: BEBC0180
	v_readlane_b32 s82, v3, 12                                 // 00000000D4EC: D2890052 00011903
	s_and_b32 s82, s82, 0xffffff                               // 00000000D4F4: 8652FF52 00FFFFFF
	s_cmp_lt_u32 s82, s66                                      // 00000000D4FC: BF0A4252
	s_cselect_b32 s20, s36, s60                                // 00000000D500: 85143C24
	v_readlane_b32 s82, v3, 13                                 // 00000000D504: D2890052 00011B03
	s_and_b32 s82, s82, 0xffffff                               // 00000000D50C: 8652FF52 00FFFFFF
	s_cmp_lt_u32 s82, s66                                      // 00000000D514: BF0A4252
	s_cselect_b32 s21, s36, s60                                // 00000000D518: 85153C24
	s_mov_b64 exec, s[20:21]                                   // 00000000D51C: BEFE0114
	buffer_store_dword v98, v6, s[8:11], 0 offen               // 00000000D520: E0701000 80026206
	s_mov_b64 exec, s[36:37]                                   // 00000000D528: BEFE0124
	v_mov_b32_e32 v6, v77                                      // 00000000D52C: 7E0C034D
	s_mov_b64 s[60:61], 0                                      // 00000000D530: BEBC0180
	v_readlane_b32 s82, v3, 14                                 // 00000000D534: D2890052 00011D03
	s_and_b32 s82, s82, 0xffffff                               // 00000000D53C: 8652FF52 00FFFFFF
	s_cmp_lt_u32 s82, s66                                      // 00000000D544: BF0A4252
	s_cselect_b32 s20, s36, s60                                // 00000000D548: 85143C24
	v_readlane_b32 s82, v3, 15                                 // 00000000D54C: D2890052 00011F03
	s_and_b32 s82, s82, 0xffffff                               // 00000000D554: 8652FF52 00FFFFFF
	s_cmp_lt_u32 s82, s66                                      // 00000000D55C: BF0A4252
	s_cselect_b32 s21, s36, s60                                // 00000000D560: 85153C24
	s_mov_b64 exec, s[20:21]                                   // 00000000D564: BEFE0114
	buffer_store_dword v99, v6, s[8:11], 0 offen               // 00000000D568: E0701000 80026306
	s_mov_b64 exec, s[36:37]                                   // 00000000D570: BEFE0124
	v_mov_b32_e32 v6, v78                                      // 00000000D574: 7E0C034E
	s_mov_b64 s[60:61], 0                                      // 00000000D578: BEBC0180
	v_readlane_b32 s82, v3, 16                                 // 00000000D57C: D2890052 00012103
	s_and_b32 s82, s82, 0xffffff                               // 00000000D584: 8652FF52 00FFFFFF
	s_cmp_lt_u32 s82, s66                                      // 00000000D58C: BF0A4252
	s_cselect_b32 s20, s36, s60                                // 00000000D590: 85143C24
	v_readlane_b32 s82, v3, 17                                 // 00000000D594: D2890052 00012303
	s_and_b32 s82, s82, 0xffffff                               // 00000000D59C: 8652FF52 00FFFFFF
	s_cmp_lt_u32 s82, s66                                      // 00000000D5A4: BF0A4252
	s_cselect_b32 s21, s36, s60                                // 00000000D5A8: 85153C24
	s_mov_b64 exec, s[20:21]                                   // 00000000D5AC: BEFE0114
	buffer_store_dword v100, v6, s[8:11], 0 offen              // 00000000D5B0: E0701000 80026406
	s_mov_b64 exec, s[36:37]                                   // 00000000D5B8: BEFE0124
	v_mov_b32_e32 v6, v79                                      // 00000000D5BC: 7E0C034F
	s_mov_b64 s[60:61], 0                                      // 00000000D5C0: BEBC0180
	v_readlane_b32 s82, v3, 18                                 // 00000000D5C4: D2890052 00012503
	s_and_b32 s82, s82, 0xffffff                               // 00000000D5CC: 8652FF52 00FFFFFF
	s_cmp_lt_u32 s82, s66                                      // 00000000D5D4: BF0A4252
	s_cselect_b32 s20, s36, s60                                // 00000000D5D8: 85143C24
	v_readlane_b32 s82, v3, 19                                 // 00000000D5DC: D2890052 00012703
	s_and_b32 s82, s82, 0xffffff                               // 00000000D5E4: 8652FF52 00FFFFFF
	s_cmp_lt_u32 s82, s66                                      // 00000000D5EC: BF0A4252
	s_cselect_b32 s21, s36, s60                                // 00000000D5F0: 85153C24
	s_mov_b64 exec, s[20:21]                                   // 00000000D5F4: BEFE0114
	buffer_store_dword v101, v6, s[8:11], 0 offen              // 00000000D5F8: E0701000 80026506
	s_mov_b64 exec, s[36:37]                                   // 00000000D600: BEFE0124
	v_mov_b32_e32 v6, v80                                      // 00000000D604: 7E0C0350
	s_mov_b64 s[60:61], 0                                      // 00000000D608: BEBC0180
	v_readlane_b32 s82, v3, 20                                 // 00000000D60C: D2890052 00012903
	s_and_b32 s82, s82, 0xffffff                               // 00000000D614: 8652FF52 00FFFFFF
	s_cmp_lt_u32 s82, s66                                      // 00000000D61C: BF0A4252
	s_cselect_b32 s20, s36, s60                                // 00000000D620: 85143C24
	v_readlane_b32 s82, v3, 21                                 // 00000000D624: D2890052 00012B03
	s_and_b32 s82, s82, 0xffffff                               // 00000000D62C: 8652FF52 00FFFFFF
	s_cmp_lt_u32 s82, s66                                      // 00000000D634: BF0A4252
	s_cselect_b32 s21, s36, s60                                // 00000000D638: 85153C24
	s_mov_b64 exec, s[20:21]                                   // 00000000D63C: BEFE0114
	buffer_store_dword v102, v6, s[8:11], 0 offen              // 00000000D640: E0701000 80026606
	s_mov_b64 exec, s[36:37]                                   // 00000000D648: BEFE0124
	v_mov_b32_e32 v6, v81                                      // 00000000D64C: 7E0C0351
	s_mov_b64 s[60:61], 0                                      // 00000000D650: BEBC0180
	v_readlane_b32 s82, v3, 22                                 // 00000000D654: D2890052 00012D03
	s_and_b32 s82, s82, 0xffffff                               // 00000000D65C: 8652FF52 00FFFFFF
	s_cmp_lt_u32 s82, s66                                      // 00000000D664: BF0A4252
	s_cselect_b32 s20, s36, s60                                // 00000000D668: 85143C24
	v_readlane_b32 s82, v3, 23                                 // 00000000D66C: D2890052 00012F03
	s_and_b32 s82, s82, 0xffffff                               // 00000000D674: 8652FF52 00FFFFFF
	s_cmp_lt_u32 s82, s66                                      // 00000000D67C: BF0A4252
	s_cselect_b32 s21, s36, s60                                // 00000000D680: 85153C24
	s_mov_b64 exec, s[20:21]                                   // 00000000D684: BEFE0114
	buffer_store_dword v103, v6, s[8:11], 0 offen              // 00000000D688: E0701000 80026706
	s_mov_b64 exec, s[36:37]                                   // 00000000D690: BEFE0124
	v_mov_b32_e32 v6, v82                                      // 00000000D694: 7E0C0352
	s_mov_b64 s[60:61], 0                                      // 00000000D698: BEBC0180
	v_readlane_b32 s82, v3, 24                                 // 00000000D69C: D2890052 00013103
	s_and_b32 s82, s82, 0xffffff                               // 00000000D6A4: 8652FF52 00FFFFFF
	s_cmp_lt_u32 s82, s66                                      // 00000000D6AC: BF0A4252
	s_cselect_b32 s20, s36, s60                                // 00000000D6B0: 85143C24
	v_readlane_b32 s82, v3, 25                                 // 00000000D6B4: D2890052 00013303
	s_and_b32 s82, s82, 0xffffff                               // 00000000D6BC: 8652FF52 00FFFFFF
	s_cmp_lt_u32 s82, s66                                      // 00000000D6C4: BF0A4252
	s_cselect_b32 s21, s36, s60                                // 00000000D6C8: 85153C24
	s_mov_b64 exec, s[20:21]                                   // 00000000D6CC: BEFE0114
	buffer_store_dword v104, v6, s[8:11], 0 offen              // 00000000D6D0: E0701000 80026806
	s_mov_b64 exec, s[36:37]                                   // 00000000D6D8: BEFE0124
	v_mov_b32_e32 v6, v83                                      // 00000000D6DC: 7E0C0353
	s_mov_b64 s[60:61], 0                                      // 00000000D6E0: BEBC0180
	v_readlane_b32 s82, v3, 26                                 // 00000000D6E4: D2890052 00013503
	s_and_b32 s82, s82, 0xffffff                               // 00000000D6EC: 8652FF52 00FFFFFF
	s_cmp_lt_u32 s82, s66                                      // 00000000D6F4: BF0A4252
	s_cselect_b32 s20, s36, s60                                // 00000000D6F8: 85143C24
	v_readlane_b32 s82, v3, 27                                 // 00000000D6FC: D2890052 00013703
	s_and_b32 s82, s82, 0xffffff                               // 00000000D704: 8652FF52 00FFFFFF
	s_cmp_lt_u32 s82, s66                                      // 00000000D70C: BF0A4252
	s_cselect_b32 s21, s36, s60                                // 00000000D710: 85153C24
	s_mov_b64 exec, s[20:21]                                   // 00000000D714: BEFE0114
	buffer_store_dword v105, v6, s[8:11], 0 offen              // 00000000D718: E0701000 80026906
	s_mov_b64 exec, s[36:37]                                   // 00000000D720: BEFE0124
	v_mov_b32_e32 v6, v84                                      // 00000000D724: 7E0C0354
	s_mov_b64 s[60:61], 0                                      // 00000000D728: BEBC0180
	v_readlane_b32 s82, v3, 28                                 // 00000000D72C: D2890052 00013903
	s_and_b32 s82, s82, 0xffffff                               // 00000000D734: 8652FF52 00FFFFFF
	s_cmp_lt_u32 s82, s66                                      // 00000000D73C: BF0A4252
	s_cselect_b32 s20, s36, s60                                // 00000000D740: 85143C24
	v_readlane_b32 s82, v3, 29                                 // 00000000D744: D2890052 00013B03
	s_and_b32 s82, s82, 0xffffff                               // 00000000D74C: 8652FF52 00FFFFFF
	s_cmp_lt_u32 s82, s66                                      // 00000000D754: BF0A4252
	s_cselect_b32 s21, s36, s60                                // 00000000D758: 85153C24
	s_mov_b64 exec, s[20:21]                                   // 00000000D75C: BEFE0114
	buffer_store_dword v106, v6, s[8:11], 0 offen              // 00000000D760: E0701000 80026A06
	s_mov_b64 exec, s[36:37]                                   // 00000000D768: BEFE0124
	v_mov_b32_e32 v6, v85                                      // 00000000D76C: 7E0C0355
	s_mov_b64 s[60:61], 0                                      // 00000000D770: BEBC0180
	v_readlane_b32 s82, v3, 30                                 // 00000000D774: D2890052 00013D03
	s_and_b32 s82, s82, 0xffffff                               // 00000000D77C: 8652FF52 00FFFFFF
	s_cmp_lt_u32 s82, s66                                      // 00000000D784: BF0A4252
	s_cselect_b32 s20, s36, s60                                // 00000000D788: 85143C24
	v_readlane_b32 s82, v3, 31                                 // 00000000D78C: D2890052 00013F03
	s_and_b32 s82, s82, 0xffffff                               // 00000000D794: 8652FF52 00FFFFFF
	s_cmp_lt_u32 s82, s66                                      // 00000000D79C: BF0A4252
	s_cselect_b32 s21, s36, s60                                // 00000000D7A0: 85153C24
	s_mov_b64 exec, s[20:21]                                   // 00000000D7A4: BEFE0114
	buffer_store_dword v107, v6, s[8:11], 0 offen              // 00000000D7A8: E0701000 80026B06
	s_mov_b64 exec, s[36:37]                                   // 00000000D7B0: BEFE0124
	v_mov_b32_e32 v6, v86                                      // 00000000D7B4: 7E0C0356
	s_mov_b64 s[60:61], 0                                      // 00000000D7B8: BEBC0180
	v_readlane_b32 s82, v3, 32                                 // 00000000D7BC: D2890052 00014103
	s_and_b32 s82, s82, 0xffffff                               // 00000000D7C4: 8652FF52 00FFFFFF
	s_cmp_lt_u32 s82, s66                                      // 00000000D7CC: BF0A4252
	s_cselect_b32 s20, s36, s60                                // 00000000D7D0: 85143C24
	v_readlane_b32 s82, v3, 33                                 // 00000000D7D4: D2890052 00014303
	s_and_b32 s82, s82, 0xffffff                               // 00000000D7DC: 8652FF52 00FFFFFF
	s_cmp_lt_u32 s82, s66                                      // 00000000D7E4: BF0A4252
	s_cselect_b32 s21, s36, s60                                // 00000000D7E8: 85153C24
	s_mov_b64 exec, s[20:21]                                   // 00000000D7EC: BEFE0114
	buffer_store_dword v108, v6, s[8:11], 0 offen              // 00000000D7F0: E0701000 80026C06
	s_mov_b64 exec, s[36:37]                                   // 00000000D7F8: BEFE0124
	v_mov_b32_e32 v6, v87                                      // 00000000D7FC: 7E0C0357
	s_mov_b64 s[60:61], 0                                      // 00000000D800: BEBC0180
	v_readlane_b32 s82, v3, 34                                 // 00000000D804: D2890052 00014503
	s_and_b32 s82, s82, 0xffffff                               // 00000000D80C: 8652FF52 00FFFFFF
	s_cmp_lt_u32 s82, s66                                      // 00000000D814: BF0A4252
	s_cselect_b32 s20, s36, s60                                // 00000000D818: 85143C24
	v_readlane_b32 s82, v3, 35                                 // 00000000D81C: D2890052 00014703
	s_and_b32 s82, s82, 0xffffff                               // 00000000D824: 8652FF52 00FFFFFF
	s_cmp_lt_u32 s82, s66                                      // 00000000D82C: BF0A4252
	s_cselect_b32 s21, s36, s60                                // 00000000D830: 85153C24
	s_mov_b64 exec, s[20:21]                                   // 00000000D834: BEFE0114
	buffer_store_dword v109, v6, s[8:11], 0 offen              // 00000000D838: E0701000 80026D06
	s_mov_b64 exec, s[36:37]                                   // 00000000D840: BEFE0124
	v_mov_b32_e32 v6, v88                                      // 00000000D844: 7E0C0358
	s_mov_b64 s[60:61], 0                                      // 00000000D848: BEBC0180
	v_readlane_b32 s82, v3, 36                                 // 00000000D84C: D2890052 00014903
	s_and_b32 s82, s82, 0xffffff                               // 00000000D854: 8652FF52 00FFFFFF
	s_cmp_lt_u32 s82, s66                                      // 00000000D85C: BF0A4252
	s_cselect_b32 s20, s36, s60                                // 00000000D860: 85143C24
	v_readlane_b32 s82, v3, 37                                 // 00000000D864: D2890052 00014B03
	s_and_b32 s82, s82, 0xffffff                               // 00000000D86C: 8652FF52 00FFFFFF
	s_cmp_lt_u32 s82, s66                                      // 00000000D874: BF0A4252
	s_cselect_b32 s21, s36, s60                                // 00000000D878: 85153C24
	s_mov_b64 exec, s[20:21]                                   // 00000000D87C: BEFE0114
	buffer_store_dword v110, v6, s[8:11], 0 offen              // 00000000D880: E0701000 80026E06
	s_mov_b64 exec, s[36:37]                                   // 00000000D888: BEFE0124
	v_mov_b32_e32 v6, v89                                      // 00000000D88C: 7E0C0359
	s_mov_b64 s[60:61], 0                                      // 00000000D890: BEBC0180
	v_readlane_b32 s82, v3, 38                                 // 00000000D894: D2890052 00014D03
	s_and_b32 s82, s82, 0xffffff                               // 00000000D89C: 8652FF52 00FFFFFF
	s_cmp_lt_u32 s82, s66                                      // 00000000D8A4: BF0A4252
	s_cselect_b32 s20, s36, s60                                // 00000000D8A8: 85143C24
	v_readlane_b32 s82, v3, 39                                 // 00000000D8AC: D2890052 00014F03
	s_and_b32 s82, s82, 0xffffff                               // 00000000D8B4: 8652FF52 00FFFFFF
	s_cmp_lt_u32 s82, s66                                      // 00000000D8BC: BF0A4252
	s_cselect_b32 s21, s36, s60                                // 00000000D8C0: 85153C24
	s_mov_b64 exec, s[20:21]                                   // 00000000D8C4: BEFE0114
	buffer_store_dword v111, v6, s[8:11], 0 offen              // 00000000D8C8: E0701000 80026F06
	s_mov_b64 exec, s[36:37]                                   // 00000000D8D0: BEFE0124
	s_branch label_342B                                        // 00000000D8D4: BF820872

000000000000d8d8 <label_2BB9>:
	ds_write_b64 v20, v[92:93]                                 // 00000000D8D8: D89A0000 00005C14
	ds_write_b64 v20, v[96:97] offset:2176                     // 00000000D8E0: D89A0880 00006014
	ds_write_b64 v20, v[100:101] offset:4352                   // 00000000D8E8: D89A1100 00006414
	ds_write_b64 v20, v[104:105] offset:6528                   // 00000000D8F0: D89A1980 00006814
	ds_write_b64 v20, v[108:109] offset:8704                   // 00000000D8F8: D89A2200 00006C14
	ds_write_b64 v20, v[112:113] offset:10880                  // 00000000D900: D89A2A80 00007014
	ds_write_b64 v20, v[116:117] offset:13056                  // 00000000D908: D89A3300 00007414
	ds_write_b64 v20, v[120:121] offset:15232                  // 00000000D910: D89A3B80 00007814
	ds_write_b64 v20, v[124:125] offset:17408                  // 00000000D918: D89A4400 00007C14
	ds_write_b64 v20, v[128:129] offset:19584                  // 00000000D920: D89A4C80 00008014
	v_lshrrev_b32_e32 v4, 5, v0                                // 00000000D928: 20080085
	v_xor_b32_e32 v5, 1, v4                                    // 00000000D92C: 2A0A0881
	s_mul_i32 s60, s65, 2                                      // 00000000D930: 923C8241
	s_cmp_eq_u32 s88, 0                                        // 00000000D934: BF068058
	s_cselect_b32 s61, 1, 4                                    // 00000000D938: 853D8481
	s_mul_i32 s60, s61, s60                                    // 00000000D93C: 923C3C3D
	v_readlane_b32 s82, v3, 0                                  // 00000000D940: D2890052 00010103
	s_lshr_b32 s61, s82, 24                                    // 00000000D948: 8F3D9852
	s_and_b32 s82, s82, 0xffffff                               // 00000000D94C: 8652FF52 00FFFFFF
	s_mul_i32 s82, s82, s71                                    // 00000000D954: 92524752
	s_mul_i32 s61, s60, s61                                    // 00000000D958: 923D3D3C
	s_add_u32 s82, s82, s61                                    // 00000000D95C: 80523D52
	v_mul_lo_u32 v6, v5, s82                                   // 00000000D960: D2850006 0000A505
	v_readlane_b32 s82, v3, 1                                  // 00000000D968: D2890052 00010303
	s_lshr_b32 s61, s82, 24                                    // 00000000D970: 8F3D9852
	s_and_b32 s82, s82, 0xffffff                               // 00000000D974: 8652FF52 00FFFFFF
	s_mul_i32 s82, s82, s71                                    // 00000000D97C: 92524752
	s_mul_i32 s61, s60, s61                                    // 00000000D980: 923D3D3C
	s_add_u32 s82, s82, s61                                    // 00000000D984: 80523D52
	v_mul_lo_u32 v7, v4, s82                                   // 00000000D988: D2850007 0000A504
	v_add_u32_e32 v70, v6, v7                                  // 00000000D990: 688C0F06
	v_readlane_b32 s82, v3, 2                                  // 00000000D994: D2890052 00010503
	s_lshr_b32 s61, s82, 24                                    // 00000000D99C: 8F3D9852
	s_and_b32 s82, s82, 0xffffff                               // 00000000D9A0: 8652FF52 00FFFFFF
	s_mul_i32 s82, s82, s71                                    // 00000000D9A8: 92524752
	s_mul_i32 s61, s60, s61                                    // 00000000D9AC: 923D3D3C
	s_add_u32 s82, s82, s61                                    // 00000000D9B0: 80523D52
	v_mul_lo_u32 v6, v5, s82                                   // 00000000D9B4: D2850006 0000A505
	v_readlane_b32 s82, v3, 3                                  // 00000000D9BC: D2890052 00010703
	s_lshr_b32 s61, s82, 24                                    // 00000000D9C4: 8F3D9852
	s_and_b32 s82, s82, 0xffffff                               // 00000000D9C8: 8652FF52 00FFFFFF
	s_mul_i32 s82, s82, s71                                    // 00000000D9D0: 92524752
	s_mul_i32 s61, s60, s61                                    // 00000000D9D4: 923D3D3C
	s_add_u32 s82, s82, s61                                    // 00000000D9D8: 80523D52
	v_mul_lo_u32 v7, v4, s82                                   // 00000000D9DC: D2850007 0000A504
	v_add_u32_e32 v71, v6, v7                                  // 00000000D9E4: 688E0F06
	v_readlane_b32 s82, v3, 4                                  // 00000000D9E8: D2890052 00010903
	s_lshr_b32 s61, s82, 24                                    // 00000000D9F0: 8F3D9852
	s_and_b32 s82, s82, 0xffffff                               // 00000000D9F4: 8652FF52 00FFFFFF
	s_mul_i32 s82, s82, s71                                    // 00000000D9FC: 92524752
	s_mul_i32 s61, s60, s61                                    // 00000000DA00: 923D3D3C
	s_add_u32 s82, s82, s61                                    // 00000000DA04: 80523D52
	v_mul_lo_u32 v6, v5, s82                                   // 00000000DA08: D2850006 0000A505
	v_readlane_b32 s82, v3, 5                                  // 00000000DA10: D2890052 00010B03
	s_lshr_b32 s61, s82, 24                                    // 00000000DA18: 8F3D9852
	s_and_b32 s82, s82, 0xffffff                               // 00000000DA1C: 8652FF52 00FFFFFF
	s_mul_i32 s82, s82, s71                                    // 00000000DA24: 92524752
	s_mul_i32 s61, s60, s61                                    // 00000000DA28: 923D3D3C
	s_add_u32 s82, s82, s61                                    // 00000000DA2C: 80523D52
	v_mul_lo_u32 v7, v4, s82                                   // 00000000DA30: D2850007 0000A504
	v_add_u32_e32 v72, v6, v7                                  // 00000000DA38: 68900F06
	v_readlane_b32 s82, v3, 6                                  // 00000000DA3C: D2890052 00010D03
	s_lshr_b32 s61, s82, 24                                    // 00000000DA44: 8F3D9852
	s_and_b32 s82, s82, 0xffffff                               // 00000000DA48: 8652FF52 00FFFFFF
	s_mul_i32 s82, s82, s71                                    // 00000000DA50: 92524752
	s_mul_i32 s61, s60, s61                                    // 00000000DA54: 923D3D3C
	s_add_u32 s82, s82, s61                                    // 00000000DA58: 80523D52
	v_mul_lo_u32 v6, v5, s82                                   // 00000000DA5C: D2850006 0000A505
	v_readlane_b32 s82, v3, 7                                  // 00000000DA64: D2890052 00010F03
	s_lshr_b32 s61, s82, 24                                    // 00000000DA6C: 8F3D9852
	s_and_b32 s82, s82, 0xffffff                               // 00000000DA70: 8652FF52 00FFFFFF
	s_mul_i32 s82, s82, s71                                    // 00000000DA78: 92524752
	s_mul_i32 s61, s60, s61                                    // 00000000DA7C: 923D3D3C
	s_add_u32 s82, s82, s61                                    // 00000000DA80: 80523D52
	v_mul_lo_u32 v7, v4, s82                                   // 00000000DA84: D2850007 0000A504
	v_add_u32_e32 v73, v6, v7                                  // 00000000DA8C: 68920F06
	v_readlane_b32 s82, v3, 8                                  // 00000000DA90: D2890052 00011103
	s_lshr_b32 s61, s82, 24                                    // 00000000DA98: 8F3D9852
	s_and_b32 s82, s82, 0xffffff                               // 00000000DA9C: 8652FF52 00FFFFFF
	s_mul_i32 s82, s82, s71                                    // 00000000DAA4: 92524752
	s_mul_i32 s61, s60, s61                                    // 00000000DAA8: 923D3D3C
	s_add_u32 s82, s82, s61                                    // 00000000DAAC: 80523D52
	v_mul_lo_u32 v6, v5, s82                                   // 00000000DAB0: D2850006 0000A505
	v_readlane_b32 s82, v3, 9                                  // 00000000DAB8: D2890052 00011303
	s_lshr_b32 s61, s82, 24                                    // 00000000DAC0: 8F3D9852
	s_and_b32 s82, s82, 0xffffff                               // 00000000DAC4: 8652FF52 00FFFFFF
	s_mul_i32 s82, s82, s71                                    // 00000000DACC: 92524752
	s_mul_i32 s61, s60, s61                                    // 00000000DAD0: 923D3D3C
	s_add_u32 s82, s82, s61                                    // 00000000DAD4: 80523D52
	v_mul_lo_u32 v7, v4, s82                                   // 00000000DAD8: D2850007 0000A504
	v_add_u32_e32 v74, v6, v7                                  // 00000000DAE0: 68940F06
	v_readlane_b32 s82, v3, 10                                 // 00000000DAE4: D2890052 00011503
	s_lshr_b32 s61, s82, 24                                    // 00000000DAEC: 8F3D9852
	s_and_b32 s82, s82, 0xffffff                               // 00000000DAF0: 8652FF52 00FFFFFF
	s_mul_i32 s82, s82, s71                                    // 00000000DAF8: 92524752
	s_mul_i32 s61, s60, s61                                    // 00000000DAFC: 923D3D3C
	s_add_u32 s82, s82, s61                                    // 00000000DB00: 80523D52
	v_mul_lo_u32 v6, v5, s82                                   // 00000000DB04: D2850006 0000A505
	v_readlane_b32 s82, v3, 11                                 // 00000000DB0C: D2890052 00011703
	s_lshr_b32 s61, s82, 24                                    // 00000000DB14: 8F3D9852
	s_and_b32 s82, s82, 0xffffff                               // 00000000DB18: 8652FF52 00FFFFFF
	s_mul_i32 s82, s82, s71                                    // 00000000DB20: 92524752
	s_mul_i32 s61, s60, s61                                    // 00000000DB24: 923D3D3C
	s_add_u32 s82, s82, s61                                    // 00000000DB28: 80523D52
	v_mul_lo_u32 v7, v4, s82                                   // 00000000DB2C: D2850007 0000A504
	v_add_u32_e32 v75, v6, v7                                  // 00000000DB34: 68960F06
	v_readlane_b32 s82, v3, 12                                 // 00000000DB38: D2890052 00011903
	s_lshr_b32 s61, s82, 24                                    // 00000000DB40: 8F3D9852
	s_and_b32 s82, s82, 0xffffff                               // 00000000DB44: 8652FF52 00FFFFFF
	s_mul_i32 s82, s82, s71                                    // 00000000DB4C: 92524752
	s_mul_i32 s61, s60, s61                                    // 00000000DB50: 923D3D3C
	s_add_u32 s82, s82, s61                                    // 00000000DB54: 80523D52
	v_mul_lo_u32 v6, v5, s82                                   // 00000000DB58: D2850006 0000A505
	v_readlane_b32 s82, v3, 13                                 // 00000000DB60: D2890052 00011B03
	s_lshr_b32 s61, s82, 24                                    // 00000000DB68: 8F3D9852
	s_and_b32 s82, s82, 0xffffff                               // 00000000DB6C: 8652FF52 00FFFFFF
	s_mul_i32 s82, s82, s71                                    // 00000000DB74: 92524752
	s_mul_i32 s61, s60, s61                                    // 00000000DB78: 923D3D3C
	s_add_u32 s82, s82, s61                                    // 00000000DB7C: 80523D52
	v_mul_lo_u32 v7, v4, s82                                   // 00000000DB80: D2850007 0000A504
	v_add_u32_e32 v76, v6, v7                                  // 00000000DB88: 68980F06
	v_readlane_b32 s82, v3, 14                                 // 00000000DB8C: D2890052 00011D03
	s_lshr_b32 s61, s82, 24                                    // 00000000DB94: 8F3D9852
	s_and_b32 s82, s82, 0xffffff                               // 00000000DB98: 8652FF52 00FFFFFF
	s_mul_i32 s82, s82, s71                                    // 00000000DBA0: 92524752
	s_mul_i32 s61, s60, s61                                    // 00000000DBA4: 923D3D3C
	s_add_u32 s82, s82, s61                                    // 00000000DBA8: 80523D52
	v_mul_lo_u32 v6, v5, s82                                   // 00000000DBAC: D2850006 0000A505
	v_readlane_b32 s82, v3, 15                                 // 00000000DBB4: D2890052 00011F03
	s_lshr_b32 s61, s82, 24                                    // 00000000DBBC: 8F3D9852
	s_and_b32 s82, s82, 0xffffff                               // 00000000DBC0: 8652FF52 00FFFFFF
	s_mul_i32 s82, s82, s71                                    // 00000000DBC8: 92524752
	s_mul_i32 s61, s60, s61                                    // 00000000DBCC: 923D3D3C
	s_add_u32 s82, s82, s61                                    // 00000000DBD0: 80523D52
	v_mul_lo_u32 v7, v4, s82                                   // 00000000DBD4: D2850007 0000A504
	v_add_u32_e32 v77, v6, v7                                  // 00000000DBDC: 689A0F06
	v_readlane_b32 s82, v3, 16                                 // 00000000DBE0: D2890052 00012103
	s_lshr_b32 s61, s82, 24                                    // 00000000DBE8: 8F3D9852
	s_and_b32 s82, s82, 0xffffff                               // 00000000DBEC: 8652FF52 00FFFFFF
	s_mul_i32 s82, s82, s71                                    // 00000000DBF4: 92524752
	s_mul_i32 s61, s60, s61                                    // 00000000DBF8: 923D3D3C
	s_add_u32 s82, s82, s61                                    // 00000000DBFC: 80523D52
	v_mul_lo_u32 v6, v5, s82                                   // 00000000DC00: D2850006 0000A505
	v_readlane_b32 s82, v3, 17                                 // 00000000DC08: D2890052 00012303
	s_lshr_b32 s61, s82, 24                                    // 00000000DC10: 8F3D9852
	s_and_b32 s82, s82, 0xffffff                               // 00000000DC14: 8652FF52 00FFFFFF
	s_mul_i32 s82, s82, s71                                    // 00000000DC1C: 92524752
	s_mul_i32 s61, s60, s61                                    // 00000000DC20: 923D3D3C
	s_add_u32 s82, s82, s61                                    // 00000000DC24: 80523D52
	v_mul_lo_u32 v7, v4, s82                                   // 00000000DC28: D2850007 0000A504
	v_add_u32_e32 v78, v6, v7                                  // 00000000DC30: 689C0F06
	v_readlane_b32 s82, v3, 18                                 // 00000000DC34: D2890052 00012503
	s_lshr_b32 s61, s82, 24                                    // 00000000DC3C: 8F3D9852
	s_and_b32 s82, s82, 0xffffff                               // 00000000DC40: 8652FF52 00FFFFFF
	s_mul_i32 s82, s82, s71                                    // 00000000DC48: 92524752
	s_mul_i32 s61, s60, s61                                    // 00000000DC4C: 923D3D3C
	s_add_u32 s82, s82, s61                                    // 00000000DC50: 80523D52
	v_mul_lo_u32 v6, v5, s82                                   // 00000000DC54: D2850006 0000A505
	v_readlane_b32 s82, v3, 19                                 // 00000000DC5C: D2890052 00012703
	s_lshr_b32 s61, s82, 24                                    // 00000000DC64: 8F3D9852
	s_and_b32 s82, s82, 0xffffff                               // 00000000DC68: 8652FF52 00FFFFFF
	s_mul_i32 s82, s82, s71                                    // 00000000DC70: 92524752
	s_mul_i32 s61, s60, s61                                    // 00000000DC74: 923D3D3C
	s_add_u32 s82, s82, s61                                    // 00000000DC78: 80523D52
	v_mul_lo_u32 v7, v4, s82                                   // 00000000DC7C: D2850007 0000A504
	v_add_u32_e32 v79, v6, v7                                  // 00000000DC84: 689E0F06
	v_readlane_b32 s82, v3, 20                                 // 00000000DC88: D2890052 00012903
	s_lshr_b32 s61, s82, 24                                    // 00000000DC90: 8F3D9852
	s_and_b32 s82, s82, 0xffffff                               // 00000000DC94: 8652FF52 00FFFFFF
	s_mul_i32 s82, s82, s71                                    // 00000000DC9C: 92524752
	s_mul_i32 s61, s60, s61                                    // 00000000DCA0: 923D3D3C
	s_add_u32 s82, s82, s61                                    // 00000000DCA4: 80523D52
	v_mul_lo_u32 v6, v5, s82                                   // 00000000DCA8: D2850006 0000A505
	v_readlane_b32 s82, v3, 21                                 // 00000000DCB0: D2890052 00012B03
	s_lshr_b32 s61, s82, 24                                    // 00000000DCB8: 8F3D9852
	s_and_b32 s82, s82, 0xffffff                               // 00000000DCBC: 8652FF52 00FFFFFF
	s_mul_i32 s82, s82, s71                                    // 00000000DCC4: 92524752
	s_mul_i32 s61, s60, s61                                    // 00000000DCC8: 923D3D3C
	s_add_u32 s82, s82, s61                                    // 00000000DCCC: 80523D52
	v_mul_lo_u32 v7, v4, s82                                   // 00000000DCD0: D2850007 0000A504
	v_add_u32_e32 v80, v6, v7                                  // 00000000DCD8: 68A00F06
	v_readlane_b32 s82, v3, 22                                 // 00000000DCDC: D2890052 00012D03
	s_lshr_b32 s61, s82, 24                                    // 00000000DCE4: 8F3D9852
	s_and_b32 s82, s82, 0xffffff                               // 00000000DCE8: 8652FF52 00FFFFFF
	s_mul_i32 s82, s82, s71                                    // 00000000DCF0: 92524752
	s_mul_i32 s61, s60, s61                                    // 00000000DCF4: 923D3D3C
	s_add_u32 s82, s82, s61                                    // 00000000DCF8: 80523D52
	v_mul_lo_u32 v6, v5, s82                                   // 00000000DCFC: D2850006 0000A505
	v_readlane_b32 s82, v3, 23                                 // 00000000DD04: D2890052 00012F03
	s_lshr_b32 s61, s82, 24                                    // 00000000DD0C: 8F3D9852
	s_and_b32 s82, s82, 0xffffff                               // 00000000DD10: 8652FF52 00FFFFFF
	s_mul_i32 s82, s82, s71                                    // 00000000DD18: 92524752
	s_mul_i32 s61, s60, s61                                    // 00000000DD1C: 923D3D3C
	s_add_u32 s82, s82, s61                                    // 00000000DD20: 80523D52
	v_mul_lo_u32 v7, v4, s82                                   // 00000000DD24: D2850007 0000A504
	v_add_u32_e32 v81, v6, v7                                  // 00000000DD2C: 68A20F06
	v_readlane_b32 s82, v3, 24                                 // 00000000DD30: D2890052 00013103
	s_lshr_b32 s61, s82, 24                                    // 00000000DD38: 8F3D9852
	s_and_b32 s82, s82, 0xffffff                               // 00000000DD3C: 8652FF52 00FFFFFF
	s_mul_i32 s82, s82, s71                                    // 00000000DD44: 92524752
	s_mul_i32 s61, s60, s61                                    // 00000000DD48: 923D3D3C
	s_add_u32 s82, s82, s61                                    // 00000000DD4C: 80523D52
	v_mul_lo_u32 v6, v5, s82                                   // 00000000DD50: D2850006 0000A505
	v_readlane_b32 s82, v3, 25                                 // 00000000DD58: D2890052 00013303
	s_lshr_b32 s61, s82, 24                                    // 00000000DD60: 8F3D9852
	s_and_b32 s82, s82, 0xffffff                               // 00000000DD64: 8652FF52 00FFFFFF
	s_mul_i32 s82, s82, s71                                    // 00000000DD6C: 92524752
	s_mul_i32 s61, s60, s61                                    // 00000000DD70: 923D3D3C
	s_add_u32 s82, s82, s61                                    // 00000000DD74: 80523D52
	v_mul_lo_u32 v7, v4, s82                                   // 00000000DD78: D2850007 0000A504
	v_add_u32_e32 v82, v6, v7                                  // 00000000DD80: 68A40F06
	v_readlane_b32 s82, v3, 26                                 // 00000000DD84: D2890052 00013503
	s_lshr_b32 s61, s82, 24                                    // 00000000DD8C: 8F3D9852
	s_and_b32 s82, s82, 0xffffff                               // 00000000DD90: 8652FF52 00FFFFFF
	s_mul_i32 s82, s82, s71                                    // 00000000DD98: 92524752
	s_mul_i32 s61, s60, s61                                    // 00000000DD9C: 923D3D3C
	s_add_u32 s82, s82, s61                                    // 00000000DDA0: 80523D52
	v_mul_lo_u32 v6, v5, s82                                   // 00000000DDA4: D2850006 0000A505
	v_readlane_b32 s82, v3, 27                                 // 00000000DDAC: D2890052 00013703
	s_lshr_b32 s61, s82, 24                                    // 00000000DDB4: 8F3D9852
	s_and_b32 s82, s82, 0xffffff                               // 00000000DDB8: 8652FF52 00FFFFFF
	s_mul_i32 s82, s82, s71                                    // 00000000DDC0: 92524752
	s_mul_i32 s61, s60, s61                                    // 00000000DDC4: 923D3D3C
	s_add_u32 s82, s82, s61                                    // 00000000DDC8: 80523D52
	v_mul_lo_u32 v7, v4, s82                                   // 00000000DDCC: D2850007 0000A504
	v_add_u32_e32 v83, v6, v7                                  // 00000000DDD4: 68A60F06
	v_readlane_b32 s82, v3, 28                                 // 00000000DDD8: D2890052 00013903
	s_lshr_b32 s61, s82, 24                                    // 00000000DDE0: 8F3D9852
	s_and_b32 s82, s82, 0xffffff                               // 00000000DDE4: 8652FF52 00FFFFFF
	s_mul_i32 s82, s82, s71                                    // 00000000DDEC: 92524752
	s_mul_i32 s61, s60, s61                                    // 00000000DDF0: 923D3D3C
	s_add_u32 s82, s82, s61                                    // 00000000DDF4: 80523D52
	v_mul_lo_u32 v6, v5, s82                                   // 00000000DDF8: D2850006 0000A505
	v_readlane_b32 s82, v3, 29                                 // 00000000DE00: D2890052 00013B03
	s_lshr_b32 s61, s82, 24                                    // 00000000DE08: 8F3D9852
	s_and_b32 s82, s82, 0xffffff                               // 00000000DE0C: 8652FF52 00FFFFFF
	s_mul_i32 s82, s82, s71                                    // 00000000DE14: 92524752
	s_mul_i32 s61, s60, s61                                    // 00000000DE18: 923D3D3C
	s_add_u32 s82, s82, s61                                    // 00000000DE1C: 80523D52
	v_mul_lo_u32 v7, v4, s82                                   // 00000000DE20: D2850007 0000A504
	v_add_u32_e32 v84, v6, v7                                  // 00000000DE28: 68A80F06
	v_readlane_b32 s82, v3, 30                                 // 00000000DE2C: D2890052 00013D03
	s_lshr_b32 s61, s82, 24                                    // 00000000DE34: 8F3D9852
	s_and_b32 s82, s82, 0xffffff                               // 00000000DE38: 8652FF52 00FFFFFF
	s_mul_i32 s82, s82, s71                                    // 00000000DE40: 92524752
	s_mul_i32 s61, s60, s61                                    // 00000000DE44: 923D3D3C
	s_add_u32 s82, s82, s61                                    // 00000000DE48: 80523D52
	v_mul_lo_u32 v6, v5, s82                                   // 00000000DE4C: D2850006 0000A505
	v_readlane_b32 s82, v3, 31                                 // 00000000DE54: D2890052 00013F03
	s_lshr_b32 s61, s82, 24                                    // 00000000DE5C: 8F3D9852
	s_and_b32 s82, s82, 0xffffff                               // 00000000DE60: 8652FF52 00FFFFFF
	s_mul_i32 s82, s82, s71                                    // 00000000DE68: 92524752
	s_mul_i32 s61, s60, s61                                    // 00000000DE6C: 923D3D3C
	s_add_u32 s82, s82, s61                                    // 00000000DE70: 80523D52
	v_mul_lo_u32 v7, v4, s82                                   // 00000000DE74: D2850007 0000A504
	v_add_u32_e32 v85, v6, v7                                  // 00000000DE7C: 68AA0F06
	v_readlane_b32 s82, v3, 32                                 // 00000000DE80: D2890052 00014103
	s_lshr_b32 s61, s82, 24                                    // 00000000DE88: 8F3D9852
	s_and_b32 s82, s82, 0xffffff                               // 00000000DE8C: 8652FF52 00FFFFFF
	s_mul_i32 s82, s82, s71                                    // 00000000DE94: 92524752
	s_mul_i32 s61, s60, s61                                    // 00000000DE98: 923D3D3C
	s_add_u32 s82, s82, s61                                    // 00000000DE9C: 80523D52
	v_mul_lo_u32 v6, v5, s82                                   // 00000000DEA0: D2850006 0000A505
	v_readlane_b32 s82, v3, 33                                 // 00000000DEA8: D2890052 00014303
	s_lshr_b32 s61, s82, 24                                    // 00000000DEB0: 8F3D9852
	s_and_b32 s82, s82, 0xffffff                               // 00000000DEB4: 8652FF52 00FFFFFF
	s_mul_i32 s82, s82, s71                                    // 00000000DEBC: 92524752
	s_mul_i32 s61, s60, s61                                    // 00000000DEC0: 923D3D3C
	s_add_u32 s82, s82, s61                                    // 00000000DEC4: 80523D52
	v_mul_lo_u32 v7, v4, s82                                   // 00000000DEC8: D2850007 0000A504
	v_add_u32_e32 v86, v6, v7                                  // 00000000DED0: 68AC0F06
	v_readlane_b32 s82, v3, 34                                 // 00000000DED4: D2890052 00014503
	s_lshr_b32 s61, s82, 24                                    // 00000000DEDC: 8F3D9852
	s_and_b32 s82, s82, 0xffffff                               // 00000000DEE0: 8652FF52 00FFFFFF
	s_mul_i32 s82, s82, s71                                    // 00000000DEE8: 92524752
	s_mul_i32 s61, s60, s61                                    // 00000000DEEC: 923D3D3C
	s_add_u32 s82, s82, s61                                    // 00000000DEF0: 80523D52
	v_mul_lo_u32 v6, v5, s82                                   // 00000000DEF4: D2850006 0000A505
	v_readlane_b32 s82, v3, 35                                 // 00000000DEFC: D2890052 00014703
	s_lshr_b32 s61, s82, 24                                    // 00000000DF04: 8F3D9852
	s_and_b32 s82, s82, 0xffffff                               // 00000000DF08: 8652FF52 00FFFFFF
	s_mul_i32 s82, s82, s71                                    // 00000000DF10: 92524752
	s_mul_i32 s61, s60, s61                                    // 00000000DF14: 923D3D3C
	s_add_u32 s82, s82, s61                                    // 00000000DF18: 80523D52
	v_mul_lo_u32 v7, v4, s82                                   // 00000000DF1C: D2850007 0000A504
	v_add_u32_e32 v87, v6, v7                                  // 00000000DF24: 68AE0F06
	v_readlane_b32 s82, v3, 36                                 // 00000000DF28: D2890052 00014903
	s_lshr_b32 s61, s82, 24                                    // 00000000DF30: 8F3D9852
	s_and_b32 s82, s82, 0xffffff                               // 00000000DF34: 8652FF52 00FFFFFF
	s_mul_i32 s82, s82, s71                                    // 00000000DF3C: 92524752
	s_mul_i32 s61, s60, s61                                    // 00000000DF40: 923D3D3C
	s_add_u32 s82, s82, s61                                    // 00000000DF44: 80523D52
	v_mul_lo_u32 v6, v5, s82                                   // 00000000DF48: D2850006 0000A505
	v_readlane_b32 s82, v3, 37                                 // 00000000DF50: D2890052 00014B03
	s_lshr_b32 s61, s82, 24                                    // 00000000DF58: 8F3D9852
	s_and_b32 s82, s82, 0xffffff                               // 00000000DF5C: 8652FF52 00FFFFFF
	s_mul_i32 s82, s82, s71                                    // 00000000DF64: 92524752
	s_mul_i32 s61, s60, s61                                    // 00000000DF68: 923D3D3C
	s_add_u32 s82, s82, s61                                    // 00000000DF6C: 80523D52
	v_mul_lo_u32 v7, v4, s82                                   // 00000000DF70: D2850007 0000A504
	v_add_u32_e32 v88, v6, v7                                  // 00000000DF78: 68B00F06
	v_readlane_b32 s82, v3, 38                                 // 00000000DF7C: D2890052 00014D03
	s_lshr_b32 s61, s82, 24                                    // 00000000DF84: 8F3D9852
	s_and_b32 s82, s82, 0xffffff                               // 00000000DF88: 8652FF52 00FFFFFF
	s_mul_i32 s82, s82, s71                                    // 00000000DF90: 92524752
	s_mul_i32 s61, s60, s61                                    // 00000000DF94: 923D3D3C
	s_add_u32 s82, s82, s61                                    // 00000000DF98: 80523D52
	v_mul_lo_u32 v6, v5, s82                                   // 00000000DF9C: D2850006 0000A505
	v_readlane_b32 s82, v3, 39                                 // 00000000DFA4: D2890052 00014F03
	s_lshr_b32 s61, s82, 24                                    // 00000000DFAC: 8F3D9852
	s_and_b32 s82, s82, 0xffffff                               // 00000000DFB0: 8652FF52 00FFFFFF
	s_mul_i32 s82, s82, s71                                    // 00000000DFB8: 92524752
	s_mul_i32 s61, s60, s61                                    // 00000000DFBC: 923D3D3C
	s_add_u32 s82, s82, s61                                    // 00000000DFC0: 80523D52
	v_mul_lo_u32 v7, v4, s82                                   // 00000000DFC4: D2850007 0000A504
	v_add_u32_e32 v89, v6, v7                                  // 00000000DFCC: 68B20F06
	v_and_b32_e32 v4, 31, v0                                   // 00000000DFD0: 2608009F
	v_lshrrev_b32_e32 v4, 1, v4                                // 00000000DFD4: 20080881
	s_cmp_eq_u32 s88, 0                                        // 00000000DFD8: BF068058
	s_cselect_b32 s61, 2, 4                                    // 00000000DFDC: 853D8482
	v_mul_lo_u32 v4, v4, s61                                   // 00000000DFE0: D2850004 00007B04
	v_and_b32_e64 v5, v0, 1                                    // 00000000DFE8: D1130005 00010300
	v_add_u32_e32 v4, v4, v5                                   // 00000000DFF0: 68080B04
	v_lshlrev_b32_e32 v4, 2, v4                                // 00000000DFF4: 24080882
	v_add_u32_e32 v70, v70, v4                                 // 00000000DFF8: 688C0946
	v_add_u32_e32 v71, v71, v4                                 // 00000000DFFC: 688E0947
	v_add_u32_e32 v72, v72, v4                                 // 00000000E000: 68900948
	v_add_u32_e32 v73, v73, v4                                 // 00000000E004: 68920949
	v_add_u32_e32 v74, v74, v4                                 // 00000000E008: 6894094A
	v_add_u32_e32 v75, v75, v4                                 // 00000000E00C: 6896094B
	v_add_u32_e32 v76, v76, v4                                 // 00000000E010: 6898094C
	v_add_u32_e32 v77, v77, v4                                 // 00000000E014: 689A094D
	v_add_u32_e32 v78, v78, v4                                 // 00000000E018: 689C094E
	v_add_u32_e32 v79, v79, v4                                 // 00000000E01C: 689E094F
	v_add_u32_e32 v80, v80, v4                                 // 00000000E020: 68A00950
	v_add_u32_e32 v81, v81, v4                                 // 00000000E024: 68A20951
	v_add_u32_e32 v82, v82, v4                                 // 00000000E028: 68A40952
	v_add_u32_e32 v83, v83, v4                                 // 00000000E02C: 68A60953
	v_add_u32_e32 v84, v84, v4                                 // 00000000E030: 68A80954
	v_add_u32_e32 v85, v85, v4                                 // 00000000E034: 68AA0955
	v_add_u32_e32 v86, v86, v4                                 // 00000000E038: 68AC0956
	v_add_u32_e32 v87, v87, v4                                 // 00000000E03C: 68AE0957
	v_add_u32_e32 v88, v88, v4                                 // 00000000E040: 68B00958
	v_add_u32_e32 v89, v89, v4                                 // 00000000E044: 68B20959
	s_waitcnt lgkmcnt(0)                                       // 00000000E048: BF8CC07F
	s_barrier                                                  // 00000000E04C: BF8A0000
	ds_read_b32 v92, v21                                       // 00000000E050: D86C0000 5C000015
	ds_read_b32 v93, v21 offset:64                             // 00000000E058: D86C0040 5D000015
	ds_read_b32 v96, v21 offset:2176                           // 00000000E060: D86C0880 60000015
	ds_read_b32 v97, v21 offset:2240                           // 00000000E068: D86C08C0 61000015
	ds_read_b32 v100, v21 offset:4352                          // 00000000E070: D86C1100 64000015
	ds_read_b32 v101, v21 offset:4416                          // 00000000E078: D86C1140 65000015
	ds_read_b32 v104, v21 offset:6528                          // 00000000E080: D86C1980 68000015
	ds_read_b32 v105, v21 offset:6592                          // 00000000E088: D86C19C0 69000015
	ds_read_b32 v108, v21 offset:8704                          // 00000000E090: D86C2200 6C000015
	ds_read_b32 v109, v21 offset:8768                          // 00000000E098: D86C2240 6D000015
	ds_read_b32 v112, v21 offset:10880                         // 00000000E0A0: D86C2A80 70000015
	ds_read_b32 v113, v21 offset:10944                         // 00000000E0A8: D86C2AC0 71000015
	ds_read_b32 v116, v21 offset:13056                         // 00000000E0B0: D86C3300 74000015
	ds_read_b32 v117, v21 offset:13120                         // 00000000E0B8: D86C3340 75000015
	ds_read_b32 v120, v21 offset:15232                         // 00000000E0C0: D86C3B80 78000015
	ds_read_b32 v121, v21 offset:15296                         // 00000000E0C8: D86C3BC0 79000015
	ds_read_b32 v124, v21 offset:17408                         // 00000000E0D0: D86C4400 7C000015
	ds_read_b32 v125, v21 offset:17472                         // 00000000E0D8: D86C4440 7D000015
	ds_read_b32 v128, v21 offset:19584                         // 00000000E0E0: D86C4C80 80000015
	ds_read_b32 v129, v21 offset:19648                         // 00000000E0E8: D86C4CC0 81000015
	s_waitcnt lgkmcnt(0)                                       // 00000000E0F0: BF8CC07F
	s_mov_b32 s36, -1                                          // 00000000E0F4: BEA400C1
	s_mov_b32 s37, -1                                          // 00000000E0F8: BEA500C1
	v_mov_b32_e32 v7, 0                                        // 00000000E0FC: 7E0E0280
	s_mov_b64 exec, s[36:37]                                   // 00000000E100: BEFE0124
	v_mov_b32_e32 v6, v70                                      // 00000000E104: 7E0C0346
	s_mov_b64 s[60:61], 0                                      // 00000000E108: BEBC0180
	v_readlane_b32 s82, v3, 0                                  // 00000000E10C: D2890052 00010103
	s_and_b32 s82, s82, 0xffffff                               // 00000000E114: 8652FF52 00FFFFFF
	s_cmp_lt_u32 s82, s66                                      // 00000000E11C: BF0A4252
	s_cselect_b32 s20, s36, s60                                // 00000000E120: 85143C24
	v_readlane_b32 s82, v3, 1                                  // 00000000E124: D2890052 00010303
	s_and_b32 s82, s82, 0xffffff                               // 00000000E12C: 8652FF52 00FFFFFF
	s_cmp_lt_u32 s82, s66                                      // 00000000E134: BF0A4252
	s_cselect_b32 s21, s36, s60                                // 00000000E138: 85153C24
	s_mov_b64 exec, s[20:21]                                   // 00000000E13C: BEFE0114
	global_atomic_add_f32 v6, v92, s[8:9]                      // 00000000E140: DD348000 00085C06
	s_mov_b64 exec, s[36:37]                                   // 00000000E148: BEFE0124
	v_mov_b32_e32 v6, v71                                      // 00000000E14C: 7E0C0347
	s_mov_b64 s[60:61], 0                                      // 00000000E150: BEBC0180
	v_readlane_b32 s82, v3, 2                                  // 00000000E154: D2890052 00010503
	s_and_b32 s82, s82, 0xffffff                               // 00000000E15C: 8652FF52 00FFFFFF
	s_cmp_lt_u32 s82, s66                                      // 00000000E164: BF0A4252
	s_cselect_b32 s20, s36, s60                                // 00000000E168: 85143C24
	v_readlane_b32 s82, v3, 3                                  // 00000000E16C: D2890052 00010703
	s_and_b32 s82, s82, 0xffffff                               // 00000000E174: 8652FF52 00FFFFFF
	s_cmp_lt_u32 s82, s66                                      // 00000000E17C: BF0A4252
	s_cselect_b32 s21, s36, s60                                // 00000000E180: 85153C24
	s_mov_b64 exec, s[20:21]                                   // 00000000E184: BEFE0114
	global_atomic_add_f32 v6, v93, s[8:9]                      // 00000000E188: DD348000 00085D06
	s_mov_b64 exec, s[36:37]                                   // 00000000E190: BEFE0124
	v_mov_b32_e32 v6, v72                                      // 00000000E194: 7E0C0348
	s_mov_b64 s[60:61], 0                                      // 00000000E198: BEBC0180
	v_readlane_b32 s82, v3, 4                                  // 00000000E19C: D2890052 00010903
	s_and_b32 s82, s82, 0xffffff                               // 00000000E1A4: 8652FF52 00FFFFFF
	s_cmp_lt_u32 s82, s66                                      // 00000000E1AC: BF0A4252
	s_cselect_b32 s20, s36, s60                                // 00000000E1B0: 85143C24
	v_readlane_b32 s82, v3, 5                                  // 00000000E1B4: D2890052 00010B03
	s_and_b32 s82, s82, 0xffffff                               // 00000000E1BC: 8652FF52 00FFFFFF
	s_cmp_lt_u32 s82, s66                                      // 00000000E1C4: BF0A4252
	s_cselect_b32 s21, s36, s60                                // 00000000E1C8: 85153C24
	s_mov_b64 exec, s[20:21]                                   // 00000000E1CC: BEFE0114
	global_atomic_add_f32 v6, v96, s[8:9]                      // 00000000E1D0: DD348000 00086006
	s_mov_b64 exec, s[36:37]                                   // 00000000E1D8: BEFE0124
	v_mov_b32_e32 v6, v73                                      // 00000000E1DC: 7E0C0349
	s_mov_b64 s[60:61], 0                                      // 00000000E1E0: BEBC0180
	v_readlane_b32 s82, v3, 6                                  // 00000000E1E4: D2890052 00010D03
	s_and_b32 s82, s82, 0xffffff                               // 00000000E1EC: 8652FF52 00FFFFFF
	s_cmp_lt_u32 s82, s66                                      // 00000000E1F4: BF0A4252
	s_cselect_b32 s20, s36, s60                                // 00000000E1F8: 85143C24
	v_readlane_b32 s82, v3, 7                                  // 00000000E1FC: D2890052 00010F03
	s_and_b32 s82, s82, 0xffffff                               // 00000000E204: 8652FF52 00FFFFFF
	s_cmp_lt_u32 s82, s66                                      // 00000000E20C: BF0A4252
	s_cselect_b32 s21, s36, s60                                // 00000000E210: 85153C24
	s_mov_b64 exec, s[20:21]                                   // 00000000E214: BEFE0114
	global_atomic_add_f32 v6, v97, s[8:9]                      // 00000000E218: DD348000 00086106
	s_mov_b64 exec, s[36:37]                                   // 00000000E220: BEFE0124
	v_mov_b32_e32 v6, v74                                      // 00000000E224: 7E0C034A
	s_mov_b64 s[60:61], 0                                      // 00000000E228: BEBC0180
	v_readlane_b32 s82, v3, 8                                  // 00000000E22C: D2890052 00011103
	s_and_b32 s82, s82, 0xffffff                               // 00000000E234: 8652FF52 00FFFFFF
	s_cmp_lt_u32 s82, s66                                      // 00000000E23C: BF0A4252
	s_cselect_b32 s20, s36, s60                                // 00000000E240: 85143C24
	v_readlane_b32 s82, v3, 9                                  // 00000000E244: D2890052 00011303
	s_and_b32 s82, s82, 0xffffff                               // 00000000E24C: 8652FF52 00FFFFFF
	s_cmp_lt_u32 s82, s66                                      // 00000000E254: BF0A4252
	s_cselect_b32 s21, s36, s60                                // 00000000E258: 85153C24
	s_mov_b64 exec, s[20:21]                                   // 00000000E25C: BEFE0114
	global_atomic_add_f32 v6, v100, s[8:9]                     // 00000000E260: DD348000 00086406
	s_mov_b64 exec, s[36:37]                                   // 00000000E268: BEFE0124
	v_mov_b32_e32 v6, v75                                      // 00000000E26C: 7E0C034B
	s_mov_b64 s[60:61], 0                                      // 00000000E270: BEBC0180
	v_readlane_b32 s82, v3, 10                                 // 00000000E274: D2890052 00011503
	s_and_b32 s82, s82, 0xffffff                               // 00000000E27C: 8652FF52 00FFFFFF
	s_cmp_lt_u32 s82, s66                                      // 00000000E284: BF0A4252
	s_cselect_b32 s20, s36, s60                                // 00000000E288: 85143C24
	v_readlane_b32 s82, v3, 11                                 // 00000000E28C: D2890052 00011703
	s_and_b32 s82, s82, 0xffffff                               // 00000000E294: 8652FF52 00FFFFFF
	s_cmp_lt_u32 s82, s66                                      // 00000000E29C: BF0A4252
	s_cselect_b32 s21, s36, s60                                // 00000000E2A0: 85153C24
	s_mov_b64 exec, s[20:21]                                   // 00000000E2A4: BEFE0114
	global_atomic_add_f32 v6, v101, s[8:9]                     // 00000000E2A8: DD348000 00086506
	s_mov_b64 exec, s[36:37]                                   // 00000000E2B0: BEFE0124
	v_mov_b32_e32 v6, v76                                      // 00000000E2B4: 7E0C034C
	s_mov_b64 s[60:61], 0                                      // 00000000E2B8: BEBC0180
	v_readlane_b32 s82, v3, 12                                 // 00000000E2BC: D2890052 00011903
	s_and_b32 s82, s82, 0xffffff                               // 00000000E2C4: 8652FF52 00FFFFFF
	s_cmp_lt_u32 s82, s66                                      // 00000000E2CC: BF0A4252
	s_cselect_b32 s20, s36, s60                                // 00000000E2D0: 85143C24
	v_readlane_b32 s82, v3, 13                                 // 00000000E2D4: D2890052 00011B03
	s_and_b32 s82, s82, 0xffffff                               // 00000000E2DC: 8652FF52 00FFFFFF
	s_cmp_lt_u32 s82, s66                                      // 00000000E2E4: BF0A4252
	s_cselect_b32 s21, s36, s60                                // 00000000E2E8: 85153C24
	s_mov_b64 exec, s[20:21]                                   // 00000000E2EC: BEFE0114
	global_atomic_add_f32 v6, v104, s[8:9]                     // 00000000E2F0: DD348000 00086806
	s_mov_b64 exec, s[36:37]                                   // 00000000E2F8: BEFE0124
	v_mov_b32_e32 v6, v77                                      // 00000000E2FC: 7E0C034D
	s_mov_b64 s[60:61], 0                                      // 00000000E300: BEBC0180
	v_readlane_b32 s82, v3, 14                                 // 00000000E304: D2890052 00011D03
	s_and_b32 s82, s82, 0xffffff                               // 00000000E30C: 8652FF52 00FFFFFF
	s_cmp_lt_u32 s82, s66                                      // 00000000E314: BF0A4252
	s_cselect_b32 s20, s36, s60                                // 00000000E318: 85143C24
	v_readlane_b32 s82, v3, 15                                 // 00000000E31C: D2890052 00011F03
	s_and_b32 s82, s82, 0xffffff                               // 00000000E324: 8652FF52 00FFFFFF
	s_cmp_lt_u32 s82, s66                                      // 00000000E32C: BF0A4252
	s_cselect_b32 s21, s36, s60                                // 00000000E330: 85153C24
	s_mov_b64 exec, s[20:21]                                   // 00000000E334: BEFE0114
	global_atomic_add_f32 v6, v105, s[8:9]                     // 00000000E338: DD348000 00086906
	s_mov_b64 exec, s[36:37]                                   // 00000000E340: BEFE0124
	v_mov_b32_e32 v6, v78                                      // 00000000E344: 7E0C034E
	s_mov_b64 s[60:61], 0                                      // 00000000E348: BEBC0180
	v_readlane_b32 s82, v3, 16                                 // 00000000E34C: D2890052 00012103
	s_and_b32 s82, s82, 0xffffff                               // 00000000E354: 8652FF52 00FFFFFF
	s_cmp_lt_u32 s82, s66                                      // 00000000E35C: BF0A4252
	s_cselect_b32 s20, s36, s60                                // 00000000E360: 85143C24
	v_readlane_b32 s82, v3, 17                                 // 00000000E364: D2890052 00012303
	s_and_b32 s82, s82, 0xffffff                               // 00000000E36C: 8652FF52 00FFFFFF
	s_cmp_lt_u32 s82, s66                                      // 00000000E374: BF0A4252
	s_cselect_b32 s21, s36, s60                                // 00000000E378: 85153C24
	s_mov_b64 exec, s[20:21]                                   // 00000000E37C: BEFE0114
	global_atomic_add_f32 v6, v108, s[8:9]                     // 00000000E380: DD348000 00086C06
	s_mov_b64 exec, s[36:37]                                   // 00000000E388: BEFE0124
	v_mov_b32_e32 v6, v79                                      // 00000000E38C: 7E0C034F
	s_mov_b64 s[60:61], 0                                      // 00000000E390: BEBC0180
	v_readlane_b32 s82, v3, 18                                 // 00000000E394: D2890052 00012503
	s_and_b32 s82, s82, 0xffffff                               // 00000000E39C: 8652FF52 00FFFFFF
	s_cmp_lt_u32 s82, s66                                      // 00000000E3A4: BF0A4252
	s_cselect_b32 s20, s36, s60                                // 00000000E3A8: 85143C24
	v_readlane_b32 s82, v3, 19                                 // 00000000E3AC: D2890052 00012703
	s_and_b32 s82, s82, 0xffffff                               // 00000000E3B4: 8652FF52 00FFFFFF
	s_cmp_lt_u32 s82, s66                                      // 00000000E3BC: BF0A4252
	s_cselect_b32 s21, s36, s60                                // 00000000E3C0: 85153C24
	s_mov_b64 exec, s[20:21]                                   // 00000000E3C4: BEFE0114
	global_atomic_add_f32 v6, v109, s[8:9]                     // 00000000E3C8: DD348000 00086D06
	s_mov_b64 exec, s[36:37]                                   // 00000000E3D0: BEFE0124
	v_mov_b32_e32 v6, v80                                      // 00000000E3D4: 7E0C0350
	s_mov_b64 s[60:61], 0                                      // 00000000E3D8: BEBC0180
	v_readlane_b32 s82, v3, 20                                 // 00000000E3DC: D2890052 00012903
	s_and_b32 s82, s82, 0xffffff                               // 00000000E3E4: 8652FF52 00FFFFFF
	s_cmp_lt_u32 s82, s66                                      // 00000000E3EC: BF0A4252
	s_cselect_b32 s20, s36, s60                                // 00000000E3F0: 85143C24
	v_readlane_b32 s82, v3, 21                                 // 00000000E3F4: D2890052 00012B03
	s_and_b32 s82, s82, 0xffffff                               // 00000000E3FC: 8652FF52 00FFFFFF
	s_cmp_lt_u32 s82, s66                                      // 00000000E404: BF0A4252
	s_cselect_b32 s21, s36, s60                                // 00000000E408: 85153C24
	s_mov_b64 exec, s[20:21]                                   // 00000000E40C: BEFE0114
	global_atomic_add_f32 v6, v112, s[8:9]                     // 00000000E410: DD348000 00087006
	s_mov_b64 exec, s[36:37]                                   // 00000000E418: BEFE0124
	v_mov_b32_e32 v6, v81                                      // 00000000E41C: 7E0C0351
	s_mov_b64 s[60:61], 0                                      // 00000000E420: BEBC0180
	v_readlane_b32 s82, v3, 22                                 // 00000000E424: D2890052 00012D03
	s_and_b32 s82, s82, 0xffffff                               // 00000000E42C: 8652FF52 00FFFFFF
	s_cmp_lt_u32 s82, s66                                      // 00000000E434: BF0A4252
	s_cselect_b32 s20, s36, s60                                // 00000000E438: 85143C24
	v_readlane_b32 s82, v3, 23                                 // 00000000E43C: D2890052 00012F03
	s_and_b32 s82, s82, 0xffffff                               // 00000000E444: 8652FF52 00FFFFFF
	s_cmp_lt_u32 s82, s66                                      // 00000000E44C: BF0A4252
	s_cselect_b32 s21, s36, s60                                // 00000000E450: 85153C24
	s_mov_b64 exec, s[20:21]                                   // 00000000E454: BEFE0114
	global_atomic_add_f32 v6, v113, s[8:9]                     // 00000000E458: DD348000 00087106
	s_mov_b64 exec, s[36:37]                                   // 00000000E460: BEFE0124
	v_mov_b32_e32 v6, v82                                      // 00000000E464: 7E0C0352
	s_mov_b64 s[60:61], 0                                      // 00000000E468: BEBC0180
	v_readlane_b32 s82, v3, 24                                 // 00000000E46C: D2890052 00013103
	s_and_b32 s82, s82, 0xffffff                               // 00000000E474: 8652FF52 00FFFFFF
	s_cmp_lt_u32 s82, s66                                      // 00000000E47C: BF0A4252
	s_cselect_b32 s20, s36, s60                                // 00000000E480: 85143C24
	v_readlane_b32 s82, v3, 25                                 // 00000000E484: D2890052 00013303
	s_and_b32 s82, s82, 0xffffff                               // 00000000E48C: 8652FF52 00FFFFFF
	s_cmp_lt_u32 s82, s66                                      // 00000000E494: BF0A4252
	s_cselect_b32 s21, s36, s60                                // 00000000E498: 85153C24
	s_mov_b64 exec, s[20:21]                                   // 00000000E49C: BEFE0114
	global_atomic_add_f32 v6, v116, s[8:9]                     // 00000000E4A0: DD348000 00087406
	s_mov_b64 exec, s[36:37]                                   // 00000000E4A8: BEFE0124
	v_mov_b32_e32 v6, v83                                      // 00000000E4AC: 7E0C0353
	s_mov_b64 s[60:61], 0                                      // 00000000E4B0: BEBC0180
	v_readlane_b32 s82, v3, 26                                 // 00000000E4B4: D2890052 00013503
	s_and_b32 s82, s82, 0xffffff                               // 00000000E4BC: 8652FF52 00FFFFFF
	s_cmp_lt_u32 s82, s66                                      // 00000000E4C4: BF0A4252
	s_cselect_b32 s20, s36, s60                                // 00000000E4C8: 85143C24
	v_readlane_b32 s82, v3, 27                                 // 00000000E4CC: D2890052 00013703
	s_and_b32 s82, s82, 0xffffff                               // 00000000E4D4: 8652FF52 00FFFFFF
	s_cmp_lt_u32 s82, s66                                      // 00000000E4DC: BF0A4252
	s_cselect_b32 s21, s36, s60                                // 00000000E4E0: 85153C24
	s_mov_b64 exec, s[20:21]                                   // 00000000E4E4: BEFE0114
	global_atomic_add_f32 v6, v117, s[8:9]                     // 00000000E4E8: DD348000 00087506
	s_mov_b64 exec, s[36:37]                                   // 00000000E4F0: BEFE0124
	v_mov_b32_e32 v6, v84                                      // 00000000E4F4: 7E0C0354
	s_mov_b64 s[60:61], 0                                      // 00000000E4F8: BEBC0180
	v_readlane_b32 s82, v3, 28                                 // 00000000E4FC: D2890052 00013903
	s_and_b32 s82, s82, 0xffffff                               // 00000000E504: 8652FF52 00FFFFFF
	s_cmp_lt_u32 s82, s66                                      // 00000000E50C: BF0A4252
	s_cselect_b32 s20, s36, s60                                // 00000000E510: 85143C24
	v_readlane_b32 s82, v3, 29                                 // 00000000E514: D2890052 00013B03
	s_and_b32 s82, s82, 0xffffff                               // 00000000E51C: 8652FF52 00FFFFFF
	s_cmp_lt_u32 s82, s66                                      // 00000000E524: BF0A4252
	s_cselect_b32 s21, s36, s60                                // 00000000E528: 85153C24
	s_mov_b64 exec, s[20:21]                                   // 00000000E52C: BEFE0114
	global_atomic_add_f32 v6, v120, s[8:9]                     // 00000000E530: DD348000 00087806
	s_mov_b64 exec, s[36:37]                                   // 00000000E538: BEFE0124
	v_mov_b32_e32 v6, v85                                      // 00000000E53C: 7E0C0355
	s_mov_b64 s[60:61], 0                                      // 00000000E540: BEBC0180
	v_readlane_b32 s82, v3, 30                                 // 00000000E544: D2890052 00013D03
	s_and_b32 s82, s82, 0xffffff                               // 00000000E54C: 8652FF52 00FFFFFF
	s_cmp_lt_u32 s82, s66                                      // 00000000E554: BF0A4252
	s_cselect_b32 s20, s36, s60                                // 00000000E558: 85143C24
	v_readlane_b32 s82, v3, 31                                 // 00000000E55C: D2890052 00013F03
	s_and_b32 s82, s82, 0xffffff                               // 00000000E564: 8652FF52 00FFFFFF
	s_cmp_lt_u32 s82, s66                                      // 00000000E56C: BF0A4252
	s_cselect_b32 s21, s36, s60                                // 00000000E570: 85153C24
	s_mov_b64 exec, s[20:21]                                   // 00000000E574: BEFE0114
	global_atomic_add_f32 v6, v121, s[8:9]                     // 00000000E578: DD348000 00087906
	s_mov_b64 exec, s[36:37]                                   // 00000000E580: BEFE0124
	v_mov_b32_e32 v6, v86                                      // 00000000E584: 7E0C0356
	s_mov_b64 s[60:61], 0                                      // 00000000E588: BEBC0180
	v_readlane_b32 s82, v3, 32                                 // 00000000E58C: D2890052 00014103
	s_and_b32 s82, s82, 0xffffff                               // 00000000E594: 8652FF52 00FFFFFF
	s_cmp_lt_u32 s82, s66                                      // 00000000E59C: BF0A4252
	s_cselect_b32 s20, s36, s60                                // 00000000E5A0: 85143C24
	v_readlane_b32 s82, v3, 33                                 // 00000000E5A4: D2890052 00014303
	s_and_b32 s82, s82, 0xffffff                               // 00000000E5AC: 8652FF52 00FFFFFF
	s_cmp_lt_u32 s82, s66                                      // 00000000E5B4: BF0A4252
	s_cselect_b32 s21, s36, s60                                // 00000000E5B8: 85153C24
	s_mov_b64 exec, s[20:21]                                   // 00000000E5BC: BEFE0114
	global_atomic_add_f32 v6, v124, s[8:9]                     // 00000000E5C0: DD348000 00087C06
	s_mov_b64 exec, s[36:37]                                   // 00000000E5C8: BEFE0124
	v_mov_b32_e32 v6, v87                                      // 00000000E5CC: 7E0C0357
	s_mov_b64 s[60:61], 0                                      // 00000000E5D0: BEBC0180
	v_readlane_b32 s82, v3, 34                                 // 00000000E5D4: D2890052 00014503
	s_and_b32 s82, s82, 0xffffff                               // 00000000E5DC: 8652FF52 00FFFFFF
	s_cmp_lt_u32 s82, s66                                      // 00000000E5E4: BF0A4252
	s_cselect_b32 s20, s36, s60                                // 00000000E5E8: 85143C24
	v_readlane_b32 s82, v3, 35                                 // 00000000E5EC: D2890052 00014703
	s_and_b32 s82, s82, 0xffffff                               // 00000000E5F4: 8652FF52 00FFFFFF
	s_cmp_lt_u32 s82, s66                                      // 00000000E5FC: BF0A4252
	s_cselect_b32 s21, s36, s60                                // 00000000E600: 85153C24
	s_mov_b64 exec, s[20:21]                                   // 00000000E604: BEFE0114
	global_atomic_add_f32 v6, v125, s[8:9]                     // 00000000E608: DD348000 00087D06
	s_mov_b64 exec, s[36:37]                                   // 00000000E610: BEFE0124
	v_mov_b32_e32 v6, v88                                      // 00000000E614: 7E0C0358
	s_mov_b64 s[60:61], 0                                      // 00000000E618: BEBC0180
	v_readlane_b32 s82, v3, 36                                 // 00000000E61C: D2890052 00014903
	s_and_b32 s82, s82, 0xffffff                               // 00000000E624: 8652FF52 00FFFFFF
	s_cmp_lt_u32 s82, s66                                      // 00000000E62C: BF0A4252
	s_cselect_b32 s20, s36, s60                                // 00000000E630: 85143C24
	v_readlane_b32 s82, v3, 37                                 // 00000000E634: D2890052 00014B03
	s_and_b32 s82, s82, 0xffffff                               // 00000000E63C: 8652FF52 00FFFFFF
	s_cmp_lt_u32 s82, s66                                      // 00000000E644: BF0A4252
	s_cselect_b32 s21, s36, s60                                // 00000000E648: 85153C24
	s_mov_b64 exec, s[20:21]                                   // 00000000E64C: BEFE0114
	global_atomic_add_f32 v6, v128, s[8:9]                     // 00000000E650: DD348000 00088006
	s_mov_b64 exec, s[36:37]                                   // 00000000E658: BEFE0124
	v_mov_b32_e32 v6, v89                                      // 00000000E65C: 7E0C0359
	s_mov_b64 s[60:61], 0                                      // 00000000E660: BEBC0180
	v_readlane_b32 s82, v3, 38                                 // 00000000E664: D2890052 00014D03
	s_and_b32 s82, s82, 0xffffff                               // 00000000E66C: 8652FF52 00FFFFFF
	s_cmp_lt_u32 s82, s66                                      // 00000000E674: BF0A4252
	s_cselect_b32 s20, s36, s60                                // 00000000E678: 85143C24
	v_readlane_b32 s82, v3, 39                                 // 00000000E67C: D2890052 00014F03
	s_and_b32 s82, s82, 0xffffff                               // 00000000E684: 8652FF52 00FFFFFF
	s_cmp_lt_u32 s82, s66                                      // 00000000E68C: BF0A4252
	s_cselect_b32 s21, s36, s60                                // 00000000E690: 85153C24
	s_mov_b64 exec, s[20:21]                                   // 00000000E694: BEFE0114
	global_atomic_add_f32 v6, v129, s[8:9]                     // 00000000E698: DD348000 00088106
	s_mov_b64 exec, s[36:37]                                   // 00000000E6A0: BEFE0124
	ds_write_b64 v20, v[94:95]                                 // 00000000E6A4: D89A0000 00005E14
	ds_write_b64 v20, v[98:99] offset:2176                     // 00000000E6AC: D89A0880 00006214
	ds_write_b64 v20, v[102:103] offset:4352                   // 00000000E6B4: D89A1100 00006614
	ds_write_b64 v20, v[106:107] offset:6528                   // 00000000E6BC: D89A1980 00006A14
	ds_write_b64 v20, v[110:111] offset:8704                   // 00000000E6C4: D89A2200 00006E14
	ds_write_b64 v20, v[114:115] offset:10880                  // 00000000E6CC: D89A2A80 00007214
	ds_write_b64 v20, v[118:119] offset:13056                  // 00000000E6D4: D89A3300 00007614
	ds_write_b64 v20, v[122:123] offset:15232                  // 00000000E6DC: D89A3B80 00007A14
	ds_write_b64 v20, v[126:127] offset:17408                  // 00000000E6E4: D89A4400 00007E14
	ds_write_b64 v20, v[130:131] offset:19584                  // 00000000E6EC: D89A4C80 00008214
	s_waitcnt lgkmcnt(0)                                       // 00000000E6F4: BF8CC07F
	s_barrier                                                  // 00000000E6F8: BF8A0000
	ds_read_b32 v94, v21                                       // 00000000E6FC: D86C0000 5E000015
	ds_read_b32 v95, v21 offset:64                             // 00000000E704: D86C0040 5F000015
	ds_read_b32 v98, v21 offset:2176                           // 00000000E70C: D86C0880 62000015
	ds_read_b32 v99, v21 offset:2240                           // 00000000E714: D86C08C0 63000015
	ds_read_b32 v102, v21 offset:4352                          // 00000000E71C: D86C1100 66000015
	ds_read_b32 v103, v21 offset:4416                          // 00000000E724: D86C1140 67000015
	ds_read_b32 v106, v21 offset:6528                          // 00000000E72C: D86C1980 6A000015
	ds_read_b32 v107, v21 offset:6592                          // 00000000E734: D86C19C0 6B000015
	ds_read_b32 v110, v21 offset:8704                          // 00000000E73C: D86C2200 6E000015
	ds_read_b32 v111, v21 offset:8768                          // 00000000E744: D86C2240 6F000015
	ds_read_b32 v114, v21 offset:10880                         // 00000000E74C: D86C2A80 72000015
	ds_read_b32 v115, v21 offset:10944                         // 00000000E754: D86C2AC0 73000015
	ds_read_b32 v118, v21 offset:13056                         // 00000000E75C: D86C3300 76000015
	ds_read_b32 v119, v21 offset:13120                         // 00000000E764: D86C3340 77000015
	ds_read_b32 v122, v21 offset:15232                         // 00000000E76C: D86C3B80 7A000015
	ds_read_b32 v123, v21 offset:15296                         // 00000000E774: D86C3BC0 7B000015
	ds_read_b32 v126, v21 offset:17408                         // 00000000E77C: D86C4400 7E000015
	ds_read_b32 v127, v21 offset:17472                         // 00000000E784: D86C4440 7F000015
	ds_read_b32 v130, v21 offset:19584                         // 00000000E78C: D86C4C80 82000015
	ds_read_b32 v131, v21 offset:19648                         // 00000000E794: D86C4CC0 83000015
	s_waitcnt lgkmcnt(0)                                       // 00000000E79C: BF8CC07F
	v_mov_b32_e32 v7, 0                                        // 00000000E7A0: 7E0E0280
	s_mov_b64 exec, s[36:37]                                   // 00000000E7A4: BEFE0124
	v_mov_b32_e32 v6, v70                                      // 00000000E7A8: 7E0C0346
	s_mov_b64 s[60:61], 0                                      // 00000000E7AC: BEBC0180
	v_readlane_b32 s82, v3, 0                                  // 00000000E7B0: D2890052 00010103
	s_and_b32 s82, s82, 0xffffff                               // 00000000E7B8: 8652FF52 00FFFFFF
	s_cmp_lt_u32 s82, s66                                      // 00000000E7C0: BF0A4252
	s_cselect_b32 s20, s36, s60                                // 00000000E7C4: 85143C24
	v_readlane_b32 s82, v3, 1                                  // 00000000E7C8: D2890052 00010303
	s_and_b32 s82, s82, 0xffffff                               // 00000000E7D0: 8652FF52 00FFFFFF
	s_cmp_lt_u32 s82, s66                                      // 00000000E7D8: BF0A4252
	s_cselect_b32 s21, s36, s60                                // 00000000E7DC: 85153C24
	s_mov_b64 exec, s[20:21]                                   // 00000000E7E0: BEFE0114
	global_atomic_add_f32 v6, v94, s[8:9] offset:8             // 00000000E7E4: DD348008 00085E06
	s_mov_b64 exec, s[36:37]                                   // 00000000E7EC: BEFE0124
	v_mov_b32_e32 v6, v71                                      // 00000000E7F0: 7E0C0347
	s_mov_b64 s[60:61], 0                                      // 00000000E7F4: BEBC0180
	v_readlane_b32 s82, v3, 2                                  // 00000000E7F8: D2890052 00010503
	s_and_b32 s82, s82, 0xffffff                               // 00000000E800: 8652FF52 00FFFFFF
	s_cmp_lt_u32 s82, s66                                      // 00000000E808: BF0A4252
	s_cselect_b32 s20, s36, s60                                // 00000000E80C: 85143C24
	v_readlane_b32 s82, v3, 3                                  // 00000000E810: D2890052 00010703
	s_and_b32 s82, s82, 0xffffff                               // 00000000E818: 8652FF52 00FFFFFF
	s_cmp_lt_u32 s82, s66                                      // 00000000E820: BF0A4252
	s_cselect_b32 s21, s36, s60                                // 00000000E824: 85153C24
	s_mov_b64 exec, s[20:21]                                   // 00000000E828: BEFE0114
	global_atomic_add_f32 v6, v95, s[8:9] offset:8             // 00000000E82C: DD348008 00085F06
	s_mov_b64 exec, s[36:37]                                   // 00000000E834: BEFE0124
	v_mov_b32_e32 v6, v72                                      // 00000000E838: 7E0C0348
	s_mov_b64 s[60:61], 0                                      // 00000000E83C: BEBC0180
	v_readlane_b32 s82, v3, 4                                  // 00000000E840: D2890052 00010903
	s_and_b32 s82, s82, 0xffffff                               // 00000000E848: 8652FF52 00FFFFFF
	s_cmp_lt_u32 s82, s66                                      // 00000000E850: BF0A4252
	s_cselect_b32 s20, s36, s60                                // 00000000E854: 85143C24
	v_readlane_b32 s82, v3, 5                                  // 00000000E858: D2890052 00010B03
	s_and_b32 s82, s82, 0xffffff                               // 00000000E860: 8652FF52 00FFFFFF
	s_cmp_lt_u32 s82, s66                                      // 00000000E868: BF0A4252
	s_cselect_b32 s21, s36, s60                                // 00000000E86C: 85153C24
	s_mov_b64 exec, s[20:21]                                   // 00000000E870: BEFE0114
	global_atomic_add_f32 v6, v98, s[8:9] offset:8             // 00000000E874: DD348008 00086206
	s_mov_b64 exec, s[36:37]                                   // 00000000E87C: BEFE0124
	v_mov_b32_e32 v6, v73                                      // 00000000E880: 7E0C0349
	s_mov_b64 s[60:61], 0                                      // 00000000E884: BEBC0180
	v_readlane_b32 s82, v3, 6                                  // 00000000E888: D2890052 00010D03
	s_and_b32 s82, s82, 0xffffff                               // 00000000E890: 8652FF52 00FFFFFF
	s_cmp_lt_u32 s82, s66                                      // 00000000E898: BF0A4252
	s_cselect_b32 s20, s36, s60                                // 00000000E89C: 85143C24
	v_readlane_b32 s82, v3, 7                                  // 00000000E8A0: D2890052 00010F03
	s_and_b32 s82, s82, 0xffffff                               // 00000000E8A8: 8652FF52 00FFFFFF
	s_cmp_lt_u32 s82, s66                                      // 00000000E8B0: BF0A4252
	s_cselect_b32 s21, s36, s60                                // 00000000E8B4: 85153C24
	s_mov_b64 exec, s[20:21]                                   // 00000000E8B8: BEFE0114
	global_atomic_add_f32 v6, v99, s[8:9] offset:8             // 00000000E8BC: DD348008 00086306
	s_mov_b64 exec, s[36:37]                                   // 00000000E8C4: BEFE0124
	v_mov_b32_e32 v6, v74                                      // 00000000E8C8: 7E0C034A
	s_mov_b64 s[60:61], 0                                      // 00000000E8CC: BEBC0180
	v_readlane_b32 s82, v3, 8                                  // 00000000E8D0: D2890052 00011103
	s_and_b32 s82, s82, 0xffffff                               // 00000000E8D8: 8652FF52 00FFFFFF
	s_cmp_lt_u32 s82, s66                                      // 00000000E8E0: BF0A4252
	s_cselect_b32 s20, s36, s60                                // 00000000E8E4: 85143C24
	v_readlane_b32 s82, v3, 9                                  // 00000000E8E8: D2890052 00011303
	s_and_b32 s82, s82, 0xffffff                               // 00000000E8F0: 8652FF52 00FFFFFF
	s_cmp_lt_u32 s82, s66                                      // 00000000E8F8: BF0A4252
	s_cselect_b32 s21, s36, s60                                // 00000000E8FC: 85153C24
	s_mov_b64 exec, s[20:21]                                   // 00000000E900: BEFE0114
	global_atomic_add_f32 v6, v102, s[8:9] offset:8            // 00000000E904: DD348008 00086606
	s_mov_b64 exec, s[36:37]                                   // 00000000E90C: BEFE0124
	v_mov_b32_e32 v6, v75                                      // 00000000E910: 7E0C034B
	s_mov_b64 s[60:61], 0                                      // 00000000E914: BEBC0180
	v_readlane_b32 s82, v3, 10                                 // 00000000E918: D2890052 00011503
	s_and_b32 s82, s82, 0xffffff                               // 00000000E920: 8652FF52 00FFFFFF
	s_cmp_lt_u32 s82, s66                                      // 00000000E928: BF0A4252
	s_cselect_b32 s20, s36, s60                                // 00000000E92C: 85143C24
	v_readlane_b32 s82, v3, 11                                 // 00000000E930: D2890052 00011703
	s_and_b32 s82, s82, 0xffffff                               // 00000000E938: 8652FF52 00FFFFFF
	s_cmp_lt_u32 s82, s66                                      // 00000000E940: BF0A4252
	s_cselect_b32 s21, s36, s60                                // 00000000E944: 85153C24
	s_mov_b64 exec, s[20:21]                                   // 00000000E948: BEFE0114
	global_atomic_add_f32 v6, v103, s[8:9] offset:8            // 00000000E94C: DD348008 00086706
	s_mov_b64 exec, s[36:37]                                   // 00000000E954: BEFE0124
	v_mov_b32_e32 v6, v76                                      // 00000000E958: 7E0C034C
	s_mov_b64 s[60:61], 0                                      // 00000000E95C: BEBC0180
	v_readlane_b32 s82, v3, 12                                 // 00000000E960: D2890052 00011903
	s_and_b32 s82, s82, 0xffffff                               // 00000000E968: 8652FF52 00FFFFFF
	s_cmp_lt_u32 s82, s66                                      // 00000000E970: BF0A4252
	s_cselect_b32 s20, s36, s60                                // 00000000E974: 85143C24
	v_readlane_b32 s82, v3, 13                                 // 00000000E978: D2890052 00011B03
	s_and_b32 s82, s82, 0xffffff                               // 00000000E980: 8652FF52 00FFFFFF
	s_cmp_lt_u32 s82, s66                                      // 00000000E988: BF0A4252
	s_cselect_b32 s21, s36, s60                                // 00000000E98C: 85153C24
	s_mov_b64 exec, s[20:21]                                   // 00000000E990: BEFE0114
	global_atomic_add_f32 v6, v106, s[8:9] offset:8            // 00000000E994: DD348008 00086A06
	s_mov_b64 exec, s[36:37]                                   // 00000000E99C: BEFE0124
	v_mov_b32_e32 v6, v77                                      // 00000000E9A0: 7E0C034D
	s_mov_b64 s[60:61], 0                                      // 00000000E9A4: BEBC0180
	v_readlane_b32 s82, v3, 14                                 // 00000000E9A8: D2890052 00011D03
	s_and_b32 s82, s82, 0xffffff                               // 00000000E9B0: 8652FF52 00FFFFFF
	s_cmp_lt_u32 s82, s66                                      // 00000000E9B8: BF0A4252
	s_cselect_b32 s20, s36, s60                                // 00000000E9BC: 85143C24
	v_readlane_b32 s82, v3, 15                                 // 00000000E9C0: D2890052 00011F03
	s_and_b32 s82, s82, 0xffffff                               // 00000000E9C8: 8652FF52 00FFFFFF
	s_cmp_lt_u32 s82, s66                                      // 00000000E9D0: BF0A4252
	s_cselect_b32 s21, s36, s60                                // 00000000E9D4: 85153C24
	s_mov_b64 exec, s[20:21]                                   // 00000000E9D8: BEFE0114
	global_atomic_add_f32 v6, v107, s[8:9] offset:8            // 00000000E9DC: DD348008 00086B06
	s_mov_b64 exec, s[36:37]                                   // 00000000E9E4: BEFE0124
	v_mov_b32_e32 v6, v78                                      // 00000000E9E8: 7E0C034E
	s_mov_b64 s[60:61], 0                                      // 00000000E9EC: BEBC0180
	v_readlane_b32 s82, v3, 16                                 // 00000000E9F0: D2890052 00012103
	s_and_b32 s82, s82, 0xffffff                               // 00000000E9F8: 8652FF52 00FFFFFF
	s_cmp_lt_u32 s82, s66                                      // 00000000EA00: BF0A4252
	s_cselect_b32 s20, s36, s60                                // 00000000EA04: 85143C24
	v_readlane_b32 s82, v3, 17                                 // 00000000EA08: D2890052 00012303
	s_and_b32 s82, s82, 0xffffff                               // 00000000EA10: 8652FF52 00FFFFFF
	s_cmp_lt_u32 s82, s66                                      // 00000000EA18: BF0A4252
	s_cselect_b32 s21, s36, s60                                // 00000000EA1C: 85153C24
	s_mov_b64 exec, s[20:21]                                   // 00000000EA20: BEFE0114
	global_atomic_add_f32 v6, v110, s[8:9] offset:8            // 00000000EA24: DD348008 00086E06
	s_mov_b64 exec, s[36:37]                                   // 00000000EA2C: BEFE0124
	v_mov_b32_e32 v6, v79                                      // 00000000EA30: 7E0C034F
	s_mov_b64 s[60:61], 0                                      // 00000000EA34: BEBC0180
	v_readlane_b32 s82, v3, 18                                 // 00000000EA38: D2890052 00012503
	s_and_b32 s82, s82, 0xffffff                               // 00000000EA40: 8652FF52 00FFFFFF
	s_cmp_lt_u32 s82, s66                                      // 00000000EA48: BF0A4252
	s_cselect_b32 s20, s36, s60                                // 00000000EA4C: 85143C24
	v_readlane_b32 s82, v3, 19                                 // 00000000EA50: D2890052 00012703
	s_and_b32 s82, s82, 0xffffff                               // 00000000EA58: 8652FF52 00FFFFFF
	s_cmp_lt_u32 s82, s66                                      // 00000000EA60: BF0A4252
	s_cselect_b32 s21, s36, s60                                // 00000000EA64: 85153C24
	s_mov_b64 exec, s[20:21]                                   // 00000000EA68: BEFE0114
	global_atomic_add_f32 v6, v111, s[8:9] offset:8            // 00000000EA6C: DD348008 00086F06
	s_mov_b64 exec, s[36:37]                                   // 00000000EA74: BEFE0124
	v_mov_b32_e32 v6, v80                                      // 00000000EA78: 7E0C0350
	s_mov_b64 s[60:61], 0                                      // 00000000EA7C: BEBC0180
	v_readlane_b32 s82, v3, 20                                 // 00000000EA80: D2890052 00012903
	s_and_b32 s82, s82, 0xffffff                               // 00000000EA88: 8652FF52 00FFFFFF
	s_cmp_lt_u32 s82, s66                                      // 00000000EA90: BF0A4252
	s_cselect_b32 s20, s36, s60                                // 00000000EA94: 85143C24
	v_readlane_b32 s82, v3, 21                                 // 00000000EA98: D2890052 00012B03
	s_and_b32 s82, s82, 0xffffff                               // 00000000EAA0: 8652FF52 00FFFFFF
	s_cmp_lt_u32 s82, s66                                      // 00000000EAA8: BF0A4252
	s_cselect_b32 s21, s36, s60                                // 00000000EAAC: 85153C24
	s_mov_b64 exec, s[20:21]                                   // 00000000EAB0: BEFE0114
	global_atomic_add_f32 v6, v114, s[8:9] offset:8            // 00000000EAB4: DD348008 00087206
	s_mov_b64 exec, s[36:37]                                   // 00000000EABC: BEFE0124
	v_mov_b32_e32 v6, v81                                      // 00000000EAC0: 7E0C0351
	s_mov_b64 s[60:61], 0                                      // 00000000EAC4: BEBC0180
	v_readlane_b32 s82, v3, 22                                 // 00000000EAC8: D2890052 00012D03
	s_and_b32 s82, s82, 0xffffff                               // 00000000EAD0: 8652FF52 00FFFFFF
	s_cmp_lt_u32 s82, s66                                      // 00000000EAD8: BF0A4252
	s_cselect_b32 s20, s36, s60                                // 00000000EADC: 85143C24
	v_readlane_b32 s82, v3, 23                                 // 00000000EAE0: D2890052 00012F03
	s_and_b32 s82, s82, 0xffffff                               // 00000000EAE8: 8652FF52 00FFFFFF
	s_cmp_lt_u32 s82, s66                                      // 00000000EAF0: BF0A4252
	s_cselect_b32 s21, s36, s60                                // 00000000EAF4: 85153C24
	s_mov_b64 exec, s[20:21]                                   // 00000000EAF8: BEFE0114
	global_atomic_add_f32 v6, v115, s[8:9] offset:8            // 00000000EAFC: DD348008 00087306
	s_mov_b64 exec, s[36:37]                                   // 00000000EB04: BEFE0124
	v_mov_b32_e32 v6, v82                                      // 00000000EB08: 7E0C0352
	s_mov_b64 s[60:61], 0                                      // 00000000EB0C: BEBC0180
	v_readlane_b32 s82, v3, 24                                 // 00000000EB10: D2890052 00013103
	s_and_b32 s82, s82, 0xffffff                               // 00000000EB18: 8652FF52 00FFFFFF
	s_cmp_lt_u32 s82, s66                                      // 00000000EB20: BF0A4252
	s_cselect_b32 s20, s36, s60                                // 00000000EB24: 85143C24
	v_readlane_b32 s82, v3, 25                                 // 00000000EB28: D2890052 00013303
	s_and_b32 s82, s82, 0xffffff                               // 00000000EB30: 8652FF52 00FFFFFF
	s_cmp_lt_u32 s82, s66                                      // 00000000EB38: BF0A4252
	s_cselect_b32 s21, s36, s60                                // 00000000EB3C: 85153C24
	s_mov_b64 exec, s[20:21]                                   // 00000000EB40: BEFE0114
	global_atomic_add_f32 v6, v118, s[8:9] offset:8            // 00000000EB44: DD348008 00087606
	s_mov_b64 exec, s[36:37]                                   // 00000000EB4C: BEFE0124
	v_mov_b32_e32 v6, v83                                      // 00000000EB50: 7E0C0353
	s_mov_b64 s[60:61], 0                                      // 00000000EB54: BEBC0180
	v_readlane_b32 s82, v3, 26                                 // 00000000EB58: D2890052 00013503
	s_and_b32 s82, s82, 0xffffff                               // 00000000EB60: 8652FF52 00FFFFFF
	s_cmp_lt_u32 s82, s66                                      // 00000000EB68: BF0A4252
	s_cselect_b32 s20, s36, s60                                // 00000000EB6C: 85143C24
	v_readlane_b32 s82, v3, 27                                 // 00000000EB70: D2890052 00013703
	s_and_b32 s82, s82, 0xffffff                               // 00000000EB78: 8652FF52 00FFFFFF
	s_cmp_lt_u32 s82, s66                                      // 00000000EB80: BF0A4252
	s_cselect_b32 s21, s36, s60                                // 00000000EB84: 85153C24
	s_mov_b64 exec, s[20:21]                                   // 00000000EB88: BEFE0114
	global_atomic_add_f32 v6, v119, s[8:9] offset:8            // 00000000EB8C: DD348008 00087706
	s_mov_b64 exec, s[36:37]                                   // 00000000EB94: BEFE0124
	v_mov_b32_e32 v6, v84                                      // 00000000EB98: 7E0C0354
	s_mov_b64 s[60:61], 0                                      // 00000000EB9C: BEBC0180
	v_readlane_b32 s82, v3, 28                                 // 00000000EBA0: D2890052 00013903
	s_and_b32 s82, s82, 0xffffff                               // 00000000EBA8: 8652FF52 00FFFFFF
	s_cmp_lt_u32 s82, s66                                      // 00000000EBB0: BF0A4252
	s_cselect_b32 s20, s36, s60                                // 00000000EBB4: 85143C24
	v_readlane_b32 s82, v3, 29                                 // 00000000EBB8: D2890052 00013B03
	s_and_b32 s82, s82, 0xffffff                               // 00000000EBC0: 8652FF52 00FFFFFF
	s_cmp_lt_u32 s82, s66                                      // 00000000EBC8: BF0A4252
	s_cselect_b32 s21, s36, s60                                // 00000000EBCC: 85153C24
	s_mov_b64 exec, s[20:21]                                   // 00000000EBD0: BEFE0114
	global_atomic_add_f32 v6, v122, s[8:9] offset:8            // 00000000EBD4: DD348008 00087A06
	s_mov_b64 exec, s[36:37]                                   // 00000000EBDC: BEFE0124
	v_mov_b32_e32 v6, v85                                      // 00000000EBE0: 7E0C0355
	s_mov_b64 s[60:61], 0                                      // 00000000EBE4: BEBC0180
	v_readlane_b32 s82, v3, 30                                 // 00000000EBE8: D2890052 00013D03
	s_and_b32 s82, s82, 0xffffff                               // 00000000EBF0: 8652FF52 00FFFFFF
	s_cmp_lt_u32 s82, s66                                      // 00000000EBF8: BF0A4252
	s_cselect_b32 s20, s36, s60                                // 00000000EBFC: 85143C24
	v_readlane_b32 s82, v3, 31                                 // 00000000EC00: D2890052 00013F03
	s_and_b32 s82, s82, 0xffffff                               // 00000000EC08: 8652FF52 00FFFFFF
	s_cmp_lt_u32 s82, s66                                      // 00000000EC10: BF0A4252
	s_cselect_b32 s21, s36, s60                                // 00000000EC14: 85153C24
	s_mov_b64 exec, s[20:21]                                   // 00000000EC18: BEFE0114
	global_atomic_add_f32 v6, v123, s[8:9] offset:8            // 00000000EC1C: DD348008 00087B06
	s_mov_b64 exec, s[36:37]                                   // 00000000EC24: BEFE0124
	v_mov_b32_e32 v6, v86                                      // 00000000EC28: 7E0C0356
	s_mov_b64 s[60:61], 0                                      // 00000000EC2C: BEBC0180
	v_readlane_b32 s82, v3, 32                                 // 00000000EC30: D2890052 00014103
	s_and_b32 s82, s82, 0xffffff                               // 00000000EC38: 8652FF52 00FFFFFF
	s_cmp_lt_u32 s82, s66                                      // 00000000EC40: BF0A4252
	s_cselect_b32 s20, s36, s60                                // 00000000EC44: 85143C24
	v_readlane_b32 s82, v3, 33                                 // 00000000EC48: D2890052 00014303
	s_and_b32 s82, s82, 0xffffff                               // 00000000EC50: 8652FF52 00FFFFFF
	s_cmp_lt_u32 s82, s66                                      // 00000000EC58: BF0A4252
	s_cselect_b32 s21, s36, s60                                // 00000000EC5C: 85153C24
	s_mov_b64 exec, s[20:21]                                   // 00000000EC60: BEFE0114
	global_atomic_add_f32 v6, v126, s[8:9] offset:8            // 00000000EC64: DD348008 00087E06
	s_mov_b64 exec, s[36:37]                                   // 00000000EC6C: BEFE0124
	v_mov_b32_e32 v6, v87                                      // 00000000EC70: 7E0C0357
	s_mov_b64 s[60:61], 0                                      // 00000000EC74: BEBC0180
	v_readlane_b32 s82, v3, 34                                 // 00000000EC78: D2890052 00014503
	s_and_b32 s82, s82, 0xffffff                               // 00000000EC80: 8652FF52 00FFFFFF
	s_cmp_lt_u32 s82, s66                                      // 00000000EC88: BF0A4252
	s_cselect_b32 s20, s36, s60                                // 00000000EC8C: 85143C24
	v_readlane_b32 s82, v3, 35                                 // 00000000EC90: D2890052 00014703
	s_and_b32 s82, s82, 0xffffff                               // 00000000EC98: 8652FF52 00FFFFFF
	s_cmp_lt_u32 s82, s66                                      // 00000000ECA0: BF0A4252
	s_cselect_b32 s21, s36, s60                                // 00000000ECA4: 85153C24
	s_mov_b64 exec, s[20:21]                                   // 00000000ECA8: BEFE0114
	global_atomic_add_f32 v6, v127, s[8:9] offset:8            // 00000000ECAC: DD348008 00087F06
	s_mov_b64 exec, s[36:37]                                   // 00000000ECB4: BEFE0124
	v_mov_b32_e32 v6, v88                                      // 00000000ECB8: 7E0C0358
	s_mov_b64 s[60:61], 0                                      // 00000000ECBC: BEBC0180
	v_readlane_b32 s82, v3, 36                                 // 00000000ECC0: D2890052 00014903
	s_and_b32 s82, s82, 0xffffff                               // 00000000ECC8: 8652FF52 00FFFFFF
	s_cmp_lt_u32 s82, s66                                      // 00000000ECD0: BF0A4252
	s_cselect_b32 s20, s36, s60                                // 00000000ECD4: 85143C24
	v_readlane_b32 s82, v3, 37                                 // 00000000ECD8: D2890052 00014B03
	s_and_b32 s82, s82, 0xffffff                               // 00000000ECE0: 8652FF52 00FFFFFF
	s_cmp_lt_u32 s82, s66                                      // 00000000ECE8: BF0A4252
	s_cselect_b32 s21, s36, s60                                // 00000000ECEC: 85153C24
	s_mov_b64 exec, s[20:21]                                   // 00000000ECF0: BEFE0114
	global_atomic_add_f32 v6, v130, s[8:9] offset:8            // 00000000ECF4: DD348008 00088206
	s_mov_b64 exec, s[36:37]                                   // 00000000ECFC: BEFE0124
	v_mov_b32_e32 v6, v89                                      // 00000000ED00: 7E0C0359
	s_mov_b64 s[60:61], 0                                      // 00000000ED04: BEBC0180
	v_readlane_b32 s82, v3, 38                                 // 00000000ED08: D2890052 00014D03
	s_and_b32 s82, s82, 0xffffff                               // 00000000ED10: 8652FF52 00FFFFFF
	s_cmp_lt_u32 s82, s66                                      // 00000000ED18: BF0A4252
	s_cselect_b32 s20, s36, s60                                // 00000000ED1C: 85143C24
	v_readlane_b32 s82, v3, 39                                 // 00000000ED20: D2890052 00014F03
	s_and_b32 s82, s82, 0xffffff                               // 00000000ED28: 8652FF52 00FFFFFF
	s_cmp_lt_u32 s82, s66                                      // 00000000ED30: BF0A4252
	s_cselect_b32 s21, s36, s60                                // 00000000ED34: 85153C24
	s_mov_b64 exec, s[20:21]                                   // 00000000ED38: BEFE0114
	global_atomic_add_f32 v6, v131, s[8:9] offset:8            // 00000000ED3C: DD348008 00088306
	s_mov_b64 exec, s[36:37]                                   // 00000000ED44: BEFE0124
	ds_write_b64 v20, v[132:133]                               // 00000000ED48: D89A0000 00008414
	ds_write_b64 v20, v[136:137] offset:2176                   // 00000000ED50: D89A0880 00008814
	ds_write_b64 v20, v[140:141] offset:4352                   // 00000000ED58: D89A1100 00008C14
	ds_write_b64 v20, v[144:145] offset:6528                   // 00000000ED60: D89A1980 00009014
	ds_write_b64 v20, v[148:149] offset:8704                   // 00000000ED68: D89A2200 00009414
	ds_write_b64 v20, v[152:153] offset:10880                  // 00000000ED70: D89A2A80 00009814
	ds_write_b64 v20, v[156:157] offset:13056                  // 00000000ED78: D89A3300 00009C14
	ds_write_b64 v20, v[160:161] offset:15232                  // 00000000ED80: D89A3B80 0000A014
	ds_write_b64 v20, v[164:165] offset:17408                  // 00000000ED88: D89A4400 0000A414
	ds_write_b64 v20, v[168:169] offset:19584                  // 00000000ED90: D89A4C80 0000A814
	s_waitcnt lgkmcnt(0)                                       // 00000000ED98: BF8CC07F
	s_barrier                                                  // 00000000ED9C: BF8A0000
	ds_read_b32 v132, v21                                      // 00000000EDA0: D86C0000 84000015
	ds_read_b32 v133, v21 offset:64                            // 00000000EDA8: D86C0040 85000015
	ds_read_b32 v136, v21 offset:2176                          // 00000000EDB0: D86C0880 88000015
	ds_read_b32 v137, v21 offset:2240                          // 00000000EDB8: D86C08C0 89000015
	ds_read_b32 v140, v21 offset:4352                          // 00000000EDC0: D86C1100 8C000015
	ds_read_b32 v141, v21 offset:4416                          // 00000000EDC8: D86C1140 8D000015
	ds_read_b32 v144, v21 offset:6528                          // 00000000EDD0: D86C1980 90000015
	ds_read_b32 v145, v21 offset:6592                          // 00000000EDD8: D86C19C0 91000015
	ds_read_b32 v148, v21 offset:8704                          // 00000000EDE0: D86C2200 94000015
	ds_read_b32 v149, v21 offset:8768                          // 00000000EDE8: D86C2240 95000015
	ds_read_b32 v152, v21 offset:10880                         // 00000000EDF0: D86C2A80 98000015
	ds_read_b32 v153, v21 offset:10944                         // 00000000EDF8: D86C2AC0 99000015
	ds_read_b32 v156, v21 offset:13056                         // 00000000EE00: D86C3300 9C000015
	ds_read_b32 v157, v21 offset:13120                         // 00000000EE08: D86C3340 9D000015
	ds_read_b32 v160, v21 offset:15232                         // 00000000EE10: D86C3B80 A0000015
	ds_read_b32 v161, v21 offset:15296                         // 00000000EE18: D86C3BC0 A1000015
	ds_read_b32 v164, v21 offset:17408                         // 00000000EE20: D86C4400 A4000015
	ds_read_b32 v165, v21 offset:17472                         // 00000000EE28: D86C4440 A5000015
	ds_read_b32 v168, v21 offset:19584                         // 00000000EE30: D86C4C80 A8000015
	ds_read_b32 v169, v21 offset:19648                         // 00000000EE38: D86C4CC0 A9000015
	s_mul_i32 s60, s65, 4                                      // 00000000EE40: 923C8441
	s_add_u32 s8, s60, s8                                      // 00000000EE44: 8008083C
	s_addc_u32 s9, 0, s9                                       // 00000000EE48: 82090980
	s_waitcnt lgkmcnt(0)                                       // 00000000EE4C: BF8CC07F
	v_mov_b32_e32 v7, 0                                        // 00000000EE50: 7E0E0280
	s_mov_b64 exec, s[36:37]                                   // 00000000EE54: BEFE0124
	v_mov_b32_e32 v6, v70                                      // 00000000EE58: 7E0C0346
	s_mov_b64 s[60:61], 0                                      // 00000000EE5C: BEBC0180
	v_readlane_b32 s82, v3, 0                                  // 00000000EE60: D2890052 00010103
	s_and_b32 s82, s82, 0xffffff                               // 00000000EE68: 8652FF52 00FFFFFF
	s_cmp_lt_u32 s82, s66                                      // 00000000EE70: BF0A4252
	s_cselect_b32 s20, s36, s60                                // 00000000EE74: 85143C24
	v_readlane_b32 s82, v3, 1                                  // 00000000EE78: D2890052 00010303
	s_and_b32 s82, s82, 0xffffff                               // 00000000EE80: 8652FF52 00FFFFFF
	s_cmp_lt_u32 s82, s66                                      // 00000000EE88: BF0A4252
	s_cselect_b32 s21, s36, s60                                // 00000000EE8C: 85153C24
	s_mov_b64 exec, s[20:21]                                   // 00000000EE90: BEFE0114
	global_atomic_add_f32 v6, v132, s[8:9]                     // 00000000EE94: DD348000 00088406
	s_mov_b64 exec, s[36:37]                                   // 00000000EE9C: BEFE0124
	v_mov_b32_e32 v6, v71                                      // 00000000EEA0: 7E0C0347
	s_mov_b64 s[60:61], 0                                      // 00000000EEA4: BEBC0180
	v_readlane_b32 s82, v3, 2                                  // 00000000EEA8: D2890052 00010503
	s_and_b32 s82, s82, 0xffffff                               // 00000000EEB0: 8652FF52 00FFFFFF
	s_cmp_lt_u32 s82, s66                                      // 00000000EEB8: BF0A4252
	s_cselect_b32 s20, s36, s60                                // 00000000EEBC: 85143C24
	v_readlane_b32 s82, v3, 3                                  // 00000000EEC0: D2890052 00010703
	s_and_b32 s82, s82, 0xffffff                               // 00000000EEC8: 8652FF52 00FFFFFF
	s_cmp_lt_u32 s82, s66                                      // 00000000EED0: BF0A4252
	s_cselect_b32 s21, s36, s60                                // 00000000EED4: 85153C24
	s_mov_b64 exec, s[20:21]                                   // 00000000EED8: BEFE0114
	global_atomic_add_f32 v6, v133, s[8:9]                     // 00000000EEDC: DD348000 00088506
	s_mov_b64 exec, s[36:37]                                   // 00000000EEE4: BEFE0124
	v_mov_b32_e32 v6, v72                                      // 00000000EEE8: 7E0C0348
	s_mov_b64 s[60:61], 0                                      // 00000000EEEC: BEBC0180
	v_readlane_b32 s82, v3, 4                                  // 00000000EEF0: D2890052 00010903
	s_and_b32 s82, s82, 0xffffff                               // 00000000EEF8: 8652FF52 00FFFFFF
	s_cmp_lt_u32 s82, s66                                      // 00000000EF00: BF0A4252
	s_cselect_b32 s20, s36, s60                                // 00000000EF04: 85143C24
	v_readlane_b32 s82, v3, 5                                  // 00000000EF08: D2890052 00010B03
	s_and_b32 s82, s82, 0xffffff                               // 00000000EF10: 8652FF52 00FFFFFF
	s_cmp_lt_u32 s82, s66                                      // 00000000EF18: BF0A4252
	s_cselect_b32 s21, s36, s60                                // 00000000EF1C: 85153C24
	s_mov_b64 exec, s[20:21]                                   // 00000000EF20: BEFE0114
	global_atomic_add_f32 v6, v136, s[8:9]                     // 00000000EF24: DD348000 00088806
	s_mov_b64 exec, s[36:37]                                   // 00000000EF2C: BEFE0124
	v_mov_b32_e32 v6, v73                                      // 00000000EF30: 7E0C0349
	s_mov_b64 s[60:61], 0                                      // 00000000EF34: BEBC0180
	v_readlane_b32 s82, v3, 6                                  // 00000000EF38: D2890052 00010D03
	s_and_b32 s82, s82, 0xffffff                               // 00000000EF40: 8652FF52 00FFFFFF
	s_cmp_lt_u32 s82, s66                                      // 00000000EF48: BF0A4252
	s_cselect_b32 s20, s36, s60                                // 00000000EF4C: 85143C24
	v_readlane_b32 s82, v3, 7                                  // 00000000EF50: D2890052 00010F03
	s_and_b32 s82, s82, 0xffffff                               // 00000000EF58: 8652FF52 00FFFFFF
	s_cmp_lt_u32 s82, s66                                      // 00000000EF60: BF0A4252
	s_cselect_b32 s21, s36, s60                                // 00000000EF64: 85153C24
	s_mov_b64 exec, s[20:21]                                   // 00000000EF68: BEFE0114
	global_atomic_add_f32 v6, v137, s[8:9]                     // 00000000EF6C: DD348000 00088906
	s_mov_b64 exec, s[36:37]                                   // 00000000EF74: BEFE0124
	v_mov_b32_e32 v6, v74                                      // 00000000EF78: 7E0C034A
	s_mov_b64 s[60:61], 0                                      // 00000000EF7C: BEBC0180
	v_readlane_b32 s82, v3, 8                                  // 00000000EF80: D2890052 00011103
	s_and_b32 s82, s82, 0xffffff                               // 00000000EF88: 8652FF52 00FFFFFF
	s_cmp_lt_u32 s82, s66                                      // 00000000EF90: BF0A4252
	s_cselect_b32 s20, s36, s60                                // 00000000EF94: 85143C24
	v_readlane_b32 s82, v3, 9                                  // 00000000EF98: D2890052 00011303
	s_and_b32 s82, s82, 0xffffff                               // 00000000EFA0: 8652FF52 00FFFFFF
	s_cmp_lt_u32 s82, s66                                      // 00000000EFA8: BF0A4252
	s_cselect_b32 s21, s36, s60                                // 00000000EFAC: 85153C24
	s_mov_b64 exec, s[20:21]                                   // 00000000EFB0: BEFE0114
	global_atomic_add_f32 v6, v140, s[8:9]                     // 00000000EFB4: DD348000 00088C06
	s_mov_b64 exec, s[36:37]                                   // 00000000EFBC: BEFE0124
	v_mov_b32_e32 v6, v75                                      // 00000000EFC0: 7E0C034B
	s_mov_b64 s[60:61], 0                                      // 00000000EFC4: BEBC0180
	v_readlane_b32 s82, v3, 10                                 // 00000000EFC8: D2890052 00011503
	s_and_b32 s82, s82, 0xffffff                               // 00000000EFD0: 8652FF52 00FFFFFF
	s_cmp_lt_u32 s82, s66                                      // 00000000EFD8: BF0A4252
	s_cselect_b32 s20, s36, s60                                // 00000000EFDC: 85143C24
	v_readlane_b32 s82, v3, 11                                 // 00000000EFE0: D2890052 00011703
	s_and_b32 s82, s82, 0xffffff                               // 00000000EFE8: 8652FF52 00FFFFFF
	s_cmp_lt_u32 s82, s66                                      // 00000000EFF0: BF0A4252
	s_cselect_b32 s21, s36, s60                                // 00000000EFF4: 85153C24
	s_mov_b64 exec, s[20:21]                                   // 00000000EFF8: BEFE0114
	global_atomic_add_f32 v6, v141, s[8:9]                     // 00000000EFFC: DD348000 00088D06
	s_mov_b64 exec, s[36:37]                                   // 00000000F004: BEFE0124
	v_mov_b32_e32 v6, v76                                      // 00000000F008: 7E0C034C
	s_mov_b64 s[60:61], 0                                      // 00000000F00C: BEBC0180
	v_readlane_b32 s82, v3, 12                                 // 00000000F010: D2890052 00011903
	s_and_b32 s82, s82, 0xffffff                               // 00000000F018: 8652FF52 00FFFFFF
	s_cmp_lt_u32 s82, s66                                      // 00000000F020: BF0A4252
	s_cselect_b32 s20, s36, s60                                // 00000000F024: 85143C24
	v_readlane_b32 s82, v3, 13                                 // 00000000F028: D2890052 00011B03
	s_and_b32 s82, s82, 0xffffff                               // 00000000F030: 8652FF52 00FFFFFF
	s_cmp_lt_u32 s82, s66                                      // 00000000F038: BF0A4252
	s_cselect_b32 s21, s36, s60                                // 00000000F03C: 85153C24
	s_mov_b64 exec, s[20:21]                                   // 00000000F040: BEFE0114
	global_atomic_add_f32 v6, v144, s[8:9]                     // 00000000F044: DD348000 00089006
	s_mov_b64 exec, s[36:37]                                   // 00000000F04C: BEFE0124
	v_mov_b32_e32 v6, v77                                      // 00000000F050: 7E0C034D
	s_mov_b64 s[60:61], 0                                      // 00000000F054: BEBC0180
	v_readlane_b32 s82, v3, 14                                 // 00000000F058: D2890052 00011D03
	s_and_b32 s82, s82, 0xffffff                               // 00000000F060: 8652FF52 00FFFFFF
	s_cmp_lt_u32 s82, s66                                      // 00000000F068: BF0A4252
	s_cselect_b32 s20, s36, s60                                // 00000000F06C: 85143C24
	v_readlane_b32 s82, v3, 15                                 // 00000000F070: D2890052 00011F03
	s_and_b32 s82, s82, 0xffffff                               // 00000000F078: 8652FF52 00FFFFFF
	s_cmp_lt_u32 s82, s66                                      // 00000000F080: BF0A4252
	s_cselect_b32 s21, s36, s60                                // 00000000F084: 85153C24
	s_mov_b64 exec, s[20:21]                                   // 00000000F088: BEFE0114
	global_atomic_add_f32 v6, v145, s[8:9]                     // 00000000F08C: DD348000 00089106
	s_mov_b64 exec, s[36:37]                                   // 00000000F094: BEFE0124
	v_mov_b32_e32 v6, v78                                      // 00000000F098: 7E0C034E
	s_mov_b64 s[60:61], 0                                      // 00000000F09C: BEBC0180
	v_readlane_b32 s82, v3, 16                                 // 00000000F0A0: D2890052 00012103
	s_and_b32 s82, s82, 0xffffff                               // 00000000F0A8: 8652FF52 00FFFFFF
	s_cmp_lt_u32 s82, s66                                      // 00000000F0B0: BF0A4252
	s_cselect_b32 s20, s36, s60                                // 00000000F0B4: 85143C24
	v_readlane_b32 s82, v3, 17                                 // 00000000F0B8: D2890052 00012303
	s_and_b32 s82, s82, 0xffffff                               // 00000000F0C0: 8652FF52 00FFFFFF
	s_cmp_lt_u32 s82, s66                                      // 00000000F0C8: BF0A4252
	s_cselect_b32 s21, s36, s60                                // 00000000F0CC: 85153C24
	s_mov_b64 exec, s[20:21]                                   // 00000000F0D0: BEFE0114
	global_atomic_add_f32 v6, v148, s[8:9]                     // 00000000F0D4: DD348000 00089406
	s_mov_b64 exec, s[36:37]                                   // 00000000F0DC: BEFE0124
	v_mov_b32_e32 v6, v79                                      // 00000000F0E0: 7E0C034F
	s_mov_b64 s[60:61], 0                                      // 00000000F0E4: BEBC0180
	v_readlane_b32 s82, v3, 18                                 // 00000000F0E8: D2890052 00012503
	s_and_b32 s82, s82, 0xffffff                               // 00000000F0F0: 8652FF52 00FFFFFF
	s_cmp_lt_u32 s82, s66                                      // 00000000F0F8: BF0A4252
	s_cselect_b32 s20, s36, s60                                // 00000000F0FC: 85143C24
	v_readlane_b32 s82, v3, 19                                 // 00000000F100: D2890052 00012703
	s_and_b32 s82, s82, 0xffffff                               // 00000000F108: 8652FF52 00FFFFFF
	s_cmp_lt_u32 s82, s66                                      // 00000000F110: BF0A4252
	s_cselect_b32 s21, s36, s60                                // 00000000F114: 85153C24
	s_mov_b64 exec, s[20:21]                                   // 00000000F118: BEFE0114
	global_atomic_add_f32 v6, v149, s[8:9]                     // 00000000F11C: DD348000 00089506
	s_mov_b64 exec, s[36:37]                                   // 00000000F124: BEFE0124
	v_mov_b32_e32 v6, v80                                      // 00000000F128: 7E0C0350
	s_mov_b64 s[60:61], 0                                      // 00000000F12C: BEBC0180
	v_readlane_b32 s82, v3, 20                                 // 00000000F130: D2890052 00012903
	s_and_b32 s82, s82, 0xffffff                               // 00000000F138: 8652FF52 00FFFFFF
	s_cmp_lt_u32 s82, s66                                      // 00000000F140: BF0A4252
	s_cselect_b32 s20, s36, s60                                // 00000000F144: 85143C24
	v_readlane_b32 s82, v3, 21                                 // 00000000F148: D2890052 00012B03
	s_and_b32 s82, s82, 0xffffff                               // 00000000F150: 8652FF52 00FFFFFF
	s_cmp_lt_u32 s82, s66                                      // 00000000F158: BF0A4252
	s_cselect_b32 s21, s36, s60                                // 00000000F15C: 85153C24
	s_mov_b64 exec, s[20:21]                                   // 00000000F160: BEFE0114
	global_atomic_add_f32 v6, v152, s[8:9]                     // 00000000F164: DD348000 00089806
	s_mov_b64 exec, s[36:37]                                   // 00000000F16C: BEFE0124
	v_mov_b32_e32 v6, v81                                      // 00000000F170: 7E0C0351
	s_mov_b64 s[60:61], 0                                      // 00000000F174: BEBC0180
	v_readlane_b32 s82, v3, 22                                 // 00000000F178: D2890052 00012D03
	s_and_b32 s82, s82, 0xffffff                               // 00000000F180: 8652FF52 00FFFFFF
	s_cmp_lt_u32 s82, s66                                      // 00000000F188: BF0A4252
	s_cselect_b32 s20, s36, s60                                // 00000000F18C: 85143C24
	v_readlane_b32 s82, v3, 23                                 // 00000000F190: D2890052 00012F03
	s_and_b32 s82, s82, 0xffffff                               // 00000000F198: 8652FF52 00FFFFFF
	s_cmp_lt_u32 s82, s66                                      // 00000000F1A0: BF0A4252
	s_cselect_b32 s21, s36, s60                                // 00000000F1A4: 85153C24
	s_mov_b64 exec, s[20:21]                                   // 00000000F1A8: BEFE0114
	global_atomic_add_f32 v6, v153, s[8:9]                     // 00000000F1AC: DD348000 00089906
	s_mov_b64 exec, s[36:37]                                   // 00000000F1B4: BEFE0124
	v_mov_b32_e32 v6, v82                                      // 00000000F1B8: 7E0C0352
	s_mov_b64 s[60:61], 0                                      // 00000000F1BC: BEBC0180
	v_readlane_b32 s82, v3, 24                                 // 00000000F1C0: D2890052 00013103
	s_and_b32 s82, s82, 0xffffff                               // 00000000F1C8: 8652FF52 00FFFFFF
	s_cmp_lt_u32 s82, s66                                      // 00000000F1D0: BF0A4252
	s_cselect_b32 s20, s36, s60                                // 00000000F1D4: 85143C24
	v_readlane_b32 s82, v3, 25                                 // 00000000F1D8: D2890052 00013303
	s_and_b32 s82, s82, 0xffffff                               // 00000000F1E0: 8652FF52 00FFFFFF
	s_cmp_lt_u32 s82, s66                                      // 00000000F1E8: BF0A4252
	s_cselect_b32 s21, s36, s60                                // 00000000F1EC: 85153C24
	s_mov_b64 exec, s[20:21]                                   // 00000000F1F0: BEFE0114
	global_atomic_add_f32 v6, v156, s[8:9]                     // 00000000F1F4: DD348000 00089C06
	s_mov_b64 exec, s[36:37]                                   // 00000000F1FC: BEFE0124
	v_mov_b32_e32 v6, v83                                      // 00000000F200: 7E0C0353
	s_mov_b64 s[60:61], 0                                      // 00000000F204: BEBC0180
	v_readlane_b32 s82, v3, 26                                 // 00000000F208: D2890052 00013503
	s_and_b32 s82, s82, 0xffffff                               // 00000000F210: 8652FF52 00FFFFFF
	s_cmp_lt_u32 s82, s66                                      // 00000000F218: BF0A4252
	s_cselect_b32 s20, s36, s60                                // 00000000F21C: 85143C24
	v_readlane_b32 s82, v3, 27                                 // 00000000F220: D2890052 00013703
	s_and_b32 s82, s82, 0xffffff                               // 00000000F228: 8652FF52 00FFFFFF
	s_cmp_lt_u32 s82, s66                                      // 00000000F230: BF0A4252
	s_cselect_b32 s21, s36, s60                                // 00000000F234: 85153C24
	s_mov_b64 exec, s[20:21]                                   // 00000000F238: BEFE0114
	global_atomic_add_f32 v6, v157, s[8:9]                     // 00000000F23C: DD348000 00089D06
	s_mov_b64 exec, s[36:37]                                   // 00000000F244: BEFE0124
	v_mov_b32_e32 v6, v84                                      // 00000000F248: 7E0C0354
	s_mov_b64 s[60:61], 0                                      // 00000000F24C: BEBC0180
	v_readlane_b32 s82, v3, 28                                 // 00000000F250: D2890052 00013903
	s_and_b32 s82, s82, 0xffffff                               // 00000000F258: 8652FF52 00FFFFFF
	s_cmp_lt_u32 s82, s66                                      // 00000000F260: BF0A4252
	s_cselect_b32 s20, s36, s60                                // 00000000F264: 85143C24
	v_readlane_b32 s82, v3, 29                                 // 00000000F268: D2890052 00013B03
	s_and_b32 s82, s82, 0xffffff                               // 00000000F270: 8652FF52 00FFFFFF
	s_cmp_lt_u32 s82, s66                                      // 00000000F278: BF0A4252
	s_cselect_b32 s21, s36, s60                                // 00000000F27C: 85153C24
	s_mov_b64 exec, s[20:21]                                   // 00000000F280: BEFE0114
	global_atomic_add_f32 v6, v160, s[8:9]                     // 00000000F284: DD348000 0008A006
	s_mov_b64 exec, s[36:37]                                   // 00000000F28C: BEFE0124
	v_mov_b32_e32 v6, v85                                      // 00000000F290: 7E0C0355
	s_mov_b64 s[60:61], 0                                      // 00000000F294: BEBC0180
	v_readlane_b32 s82, v3, 30                                 // 00000000F298: D2890052 00013D03
	s_and_b32 s82, s82, 0xffffff                               // 00000000F2A0: 8652FF52 00FFFFFF
	s_cmp_lt_u32 s82, s66                                      // 00000000F2A8: BF0A4252
	s_cselect_b32 s20, s36, s60                                // 00000000F2AC: 85143C24
	v_readlane_b32 s82, v3, 31                                 // 00000000F2B0: D2890052 00013F03
	s_and_b32 s82, s82, 0xffffff                               // 00000000F2B8: 8652FF52 00FFFFFF
	s_cmp_lt_u32 s82, s66                                      // 00000000F2C0: BF0A4252
	s_cselect_b32 s21, s36, s60                                // 00000000F2C4: 85153C24
	s_mov_b64 exec, s[20:21]                                   // 00000000F2C8: BEFE0114
	global_atomic_add_f32 v6, v161, s[8:9]                     // 00000000F2CC: DD348000 0008A106
	s_mov_b64 exec, s[36:37]                                   // 00000000F2D4: BEFE0124
	v_mov_b32_e32 v6, v86                                      // 00000000F2D8: 7E0C0356
	s_mov_b64 s[60:61], 0                                      // 00000000F2DC: BEBC0180
	v_readlane_b32 s82, v3, 32                                 // 00000000F2E0: D2890052 00014103
	s_and_b32 s82, s82, 0xffffff                               // 00000000F2E8: 8652FF52 00FFFFFF
	s_cmp_lt_u32 s82, s66                                      // 00000000F2F0: BF0A4252
	s_cselect_b32 s20, s36, s60                                // 00000000F2F4: 85143C24
	v_readlane_b32 s82, v3, 33                                 // 00000000F2F8: D2890052 00014303
	s_and_b32 s82, s82, 0xffffff                               // 00000000F300: 8652FF52 00FFFFFF
	s_cmp_lt_u32 s82, s66                                      // 00000000F308: BF0A4252
	s_cselect_b32 s21, s36, s60                                // 00000000F30C: 85153C24
	s_mov_b64 exec, s[20:21]                                   // 00000000F310: BEFE0114
	global_atomic_add_f32 v6, v164, s[8:9]                     // 00000000F314: DD348000 0008A406
	s_mov_b64 exec, s[36:37]                                   // 00000000F31C: BEFE0124
	v_mov_b32_e32 v6, v87                                      // 00000000F320: 7E0C0357
	s_mov_b64 s[60:61], 0                                      // 00000000F324: BEBC0180
	v_readlane_b32 s82, v3, 34                                 // 00000000F328: D2890052 00014503
	s_and_b32 s82, s82, 0xffffff                               // 00000000F330: 8652FF52 00FFFFFF
	s_cmp_lt_u32 s82, s66                                      // 00000000F338: BF0A4252
	s_cselect_b32 s20, s36, s60                                // 00000000F33C: 85143C24
	v_readlane_b32 s82, v3, 35                                 // 00000000F340: D2890052 00014703
	s_and_b32 s82, s82, 0xffffff                               // 00000000F348: 8652FF52 00FFFFFF
	s_cmp_lt_u32 s82, s66                                      // 00000000F350: BF0A4252
	s_cselect_b32 s21, s36, s60                                // 00000000F354: 85153C24
	s_mov_b64 exec, s[20:21]                                   // 00000000F358: BEFE0114
	global_atomic_add_f32 v6, v165, s[8:9]                     // 00000000F35C: DD348000 0008A506
	s_mov_b64 exec, s[36:37]                                   // 00000000F364: BEFE0124
	v_mov_b32_e32 v6, v88                                      // 00000000F368: 7E0C0358
	s_mov_b64 s[60:61], 0                                      // 00000000F36C: BEBC0180
	v_readlane_b32 s82, v3, 36                                 // 00000000F370: D2890052 00014903
	s_and_b32 s82, s82, 0xffffff                               // 00000000F378: 8652FF52 00FFFFFF
	s_cmp_lt_u32 s82, s66                                      // 00000000F380: BF0A4252
	s_cselect_b32 s20, s36, s60                                // 00000000F384: 85143C24
	v_readlane_b32 s82, v3, 37                                 // 00000000F388: D2890052 00014B03
	s_and_b32 s82, s82, 0xffffff                               // 00000000F390: 8652FF52 00FFFFFF
	s_cmp_lt_u32 s82, s66                                      // 00000000F398: BF0A4252
	s_cselect_b32 s21, s36, s60                                // 00000000F39C: 85153C24
	s_mov_b64 exec, s[20:21]                                   // 00000000F3A0: BEFE0114
	global_atomic_add_f32 v6, v168, s[8:9]                     // 00000000F3A4: DD348000 0008A806
	s_mov_b64 exec, s[36:37]                                   // 00000000F3AC: BEFE0124
	v_mov_b32_e32 v6, v89                                      // 00000000F3B0: 7E0C0359
	s_mov_b64 s[60:61], 0                                      // 00000000F3B4: BEBC0180
	v_readlane_b32 s82, v3, 38                                 // 00000000F3B8: D2890052 00014D03
	s_and_b32 s82, s82, 0xffffff                               // 00000000F3C0: 8652FF52 00FFFFFF
	s_cmp_lt_u32 s82, s66                                      // 00000000F3C8: BF0A4252
	s_cselect_b32 s20, s36, s60                                // 00000000F3CC: 85143C24
	v_readlane_b32 s82, v3, 39                                 // 00000000F3D0: D2890052 00014F03
	s_and_b32 s82, s82, 0xffffff                               // 00000000F3D8: 8652FF52 00FFFFFF
	s_cmp_lt_u32 s82, s66                                      // 00000000F3E0: BF0A4252
	s_cselect_b32 s21, s36, s60                                // 00000000F3E4: 85153C24
	s_mov_b64 exec, s[20:21]                                   // 00000000F3E8: BEFE0114
	global_atomic_add_f32 v6, v169, s[8:9]                     // 00000000F3EC: DD348000 0008A906
	s_mov_b64 exec, s[36:37]                                   // 00000000F3F4: BEFE0124
	ds_write_b64 v20, v[134:135]                               // 00000000F3F8: D89A0000 00008614
	ds_write_b64 v20, v[138:139] offset:2176                   // 00000000F400: D89A0880 00008A14
	ds_write_b64 v20, v[142:143] offset:4352                   // 00000000F408: D89A1100 00008E14
	ds_write_b64 v20, v[146:147] offset:6528                   // 00000000F410: D89A1980 00009214
	ds_write_b64 v20, v[150:151] offset:8704                   // 00000000F418: D89A2200 00009614
	ds_write_b64 v20, v[154:155] offset:10880                  // 00000000F420: D89A2A80 00009A14
	ds_write_b64 v20, v[158:159] offset:13056                  // 00000000F428: D89A3300 00009E14
	ds_write_b64 v20, v[162:163] offset:15232                  // 00000000F430: D89A3B80 0000A214
	ds_write_b64 v20, v[166:167] offset:17408                  // 00000000F438: D89A4400 0000A614
	ds_write_b64 v20, v[170:171] offset:19584                  // 00000000F440: D89A4C80 0000AA14
	s_waitcnt lgkmcnt(0)                                       // 00000000F448: BF8CC07F
	s_barrier                                                  // 00000000F44C: BF8A0000
	ds_read_b32 v134, v21                                      // 00000000F450: D86C0000 86000015
	ds_read_b32 v135, v21 offset:64                            // 00000000F458: D86C0040 87000015
	ds_read_b32 v138, v21 offset:2176                          // 00000000F460: D86C0880 8A000015
	ds_read_b32 v139, v21 offset:2240                          // 00000000F468: D86C08C0 8B000015
	ds_read_b32 v142, v21 offset:4352                          // 00000000F470: D86C1100 8E000015
	ds_read_b32 v143, v21 offset:4416                          // 00000000F478: D86C1140 8F000015
	ds_read_b32 v146, v21 offset:6528                          // 00000000F480: D86C1980 92000015
	ds_read_b32 v147, v21 offset:6592                          // 00000000F488: D86C19C0 93000015
	ds_read_b32 v150, v21 offset:8704                          // 00000000F490: D86C2200 96000015
	ds_read_b32 v151, v21 offset:8768                          // 00000000F498: D86C2240 97000015
	ds_read_b32 v154, v21 offset:10880                         // 00000000F4A0: D86C2A80 9A000015
	ds_read_b32 v155, v21 offset:10944                         // 00000000F4A8: D86C2AC0 9B000015
	ds_read_b32 v158, v21 offset:13056                         // 00000000F4B0: D86C3300 9E000015
	ds_read_b32 v159, v21 offset:13120                         // 00000000F4B8: D86C3340 9F000015
	ds_read_b32 v162, v21 offset:15232                         // 00000000F4C0: D86C3B80 A2000015
	ds_read_b32 v163, v21 offset:15296                         // 00000000F4C8: D86C3BC0 A3000015
	ds_read_b32 v166, v21 offset:17408                         // 00000000F4D0: D86C4400 A6000015
	ds_read_b32 v167, v21 offset:17472                         // 00000000F4D8: D86C4440 A7000015
	ds_read_b32 v170, v21 offset:19584                         // 00000000F4E0: D86C4C80 AA000015
	ds_read_b32 v171, v21 offset:19648                         // 00000000F4E8: D86C4CC0 AB000015
	s_waitcnt lgkmcnt(0)                                       // 00000000F4F0: BF8CC07F
	v_mov_b32_e32 v7, 0                                        // 00000000F4F4: 7E0E0280
	s_mov_b64 exec, s[36:37]                                   // 00000000F4F8: BEFE0124
	v_mov_b32_e32 v6, v70                                      // 00000000F4FC: 7E0C0346
	s_mov_b64 s[60:61], 0                                      // 00000000F500: BEBC0180
	v_readlane_b32 s82, v3, 0                                  // 00000000F504: D2890052 00010103
	s_and_b32 s82, s82, 0xffffff                               // 00000000F50C: 8652FF52 00FFFFFF
	s_cmp_lt_u32 s82, s66                                      // 00000000F514: BF0A4252
	s_cselect_b32 s20, s36, s60                                // 00000000F518: 85143C24
	v_readlane_b32 s82, v3, 1                                  // 00000000F51C: D2890052 00010303
	s_and_b32 s82, s82, 0xffffff                               // 00000000F524: 8652FF52 00FFFFFF
	s_cmp_lt_u32 s82, s66                                      // 00000000F52C: BF0A4252
	s_cselect_b32 s21, s36, s60                                // 00000000F530: 85153C24
	s_mov_b64 exec, s[20:21]                                   // 00000000F534: BEFE0114
	global_atomic_add_f32 v6, v134, s[8:9] offset:8            // 00000000F538: DD348008 00088606
	s_mov_b64 exec, s[36:37]                                   // 00000000F540: BEFE0124
	v_mov_b32_e32 v6, v71                                      // 00000000F544: 7E0C0347
	s_mov_b64 s[60:61], 0                                      // 00000000F548: BEBC0180
	v_readlane_b32 s82, v3, 2                                  // 00000000F54C: D2890052 00010503
	s_and_b32 s82, s82, 0xffffff                               // 00000000F554: 8652FF52 00FFFFFF
	s_cmp_lt_u32 s82, s66                                      // 00000000F55C: BF0A4252
	s_cselect_b32 s20, s36, s60                                // 00000000F560: 85143C24
	v_readlane_b32 s82, v3, 3                                  // 00000000F564: D2890052 00010703
	s_and_b32 s82, s82, 0xffffff                               // 00000000F56C: 8652FF52 00FFFFFF
	s_cmp_lt_u32 s82, s66                                      // 00000000F574: BF0A4252
	s_cselect_b32 s21, s36, s60                                // 00000000F578: 85153C24
	s_mov_b64 exec, s[20:21]                                   // 00000000F57C: BEFE0114
	global_atomic_add_f32 v6, v135, s[8:9] offset:8            // 00000000F580: DD348008 00088706
	s_mov_b64 exec, s[36:37]                                   // 00000000F588: BEFE0124
	v_mov_b32_e32 v6, v72                                      // 00000000F58C: 7E0C0348
	s_mov_b64 s[60:61], 0                                      // 00000000F590: BEBC0180
	v_readlane_b32 s82, v3, 4                                  // 00000000F594: D2890052 00010903
	s_and_b32 s82, s82, 0xffffff                               // 00000000F59C: 8652FF52 00FFFFFF
	s_cmp_lt_u32 s82, s66                                      // 00000000F5A4: BF0A4252
	s_cselect_b32 s20, s36, s60                                // 00000000F5A8: 85143C24
	v_readlane_b32 s82, v3, 5                                  // 00000000F5AC: D2890052 00010B03
	s_and_b32 s82, s82, 0xffffff                               // 00000000F5B4: 8652FF52 00FFFFFF
	s_cmp_lt_u32 s82, s66                                      // 00000000F5BC: BF0A4252
	s_cselect_b32 s21, s36, s60                                // 00000000F5C0: 85153C24
	s_mov_b64 exec, s[20:21]                                   // 00000000F5C4: BEFE0114
	global_atomic_add_f32 v6, v138, s[8:9] offset:8            // 00000000F5C8: DD348008 00088A06
	s_mov_b64 exec, s[36:37]                                   // 00000000F5D0: BEFE0124
	v_mov_b32_e32 v6, v73                                      // 00000000F5D4: 7E0C0349
	s_mov_b64 s[60:61], 0                                      // 00000000F5D8: BEBC0180
	v_readlane_b32 s82, v3, 6                                  // 00000000F5DC: D2890052 00010D03
	s_and_b32 s82, s82, 0xffffff                               // 00000000F5E4: 8652FF52 00FFFFFF
	s_cmp_lt_u32 s82, s66                                      // 00000000F5EC: BF0A4252
	s_cselect_b32 s20, s36, s60                                // 00000000F5F0: 85143C24
	v_readlane_b32 s82, v3, 7                                  // 00000000F5F4: D2890052 00010F03
	s_and_b32 s82, s82, 0xffffff                               // 00000000F5FC: 8652FF52 00FFFFFF
	s_cmp_lt_u32 s82, s66                                      // 00000000F604: BF0A4252
	s_cselect_b32 s21, s36, s60                                // 00000000F608: 85153C24
	s_mov_b64 exec, s[20:21]                                   // 00000000F60C: BEFE0114
	global_atomic_add_f32 v6, v139, s[8:9] offset:8            // 00000000F610: DD348008 00088B06
	s_mov_b64 exec, s[36:37]                                   // 00000000F618: BEFE0124
	v_mov_b32_e32 v6, v74                                      // 00000000F61C: 7E0C034A
	s_mov_b64 s[60:61], 0                                      // 00000000F620: BEBC0180
	v_readlane_b32 s82, v3, 8                                  // 00000000F624: D2890052 00011103
	s_and_b32 s82, s82, 0xffffff                               // 00000000F62C: 8652FF52 00FFFFFF
	s_cmp_lt_u32 s82, s66                                      // 00000000F634: BF0A4252
	s_cselect_b32 s20, s36, s60                                // 00000000F638: 85143C24
	v_readlane_b32 s82, v3, 9                                  // 00000000F63C: D2890052 00011303
	s_and_b32 s82, s82, 0xffffff                               // 00000000F644: 8652FF52 00FFFFFF
	s_cmp_lt_u32 s82, s66                                      // 00000000F64C: BF0A4252
	s_cselect_b32 s21, s36, s60                                // 00000000F650: 85153C24
	s_mov_b64 exec, s[20:21]                                   // 00000000F654: BEFE0114
	global_atomic_add_f32 v6, v142, s[8:9] offset:8            // 00000000F658: DD348008 00088E06
	s_mov_b64 exec, s[36:37]                                   // 00000000F660: BEFE0124
	v_mov_b32_e32 v6, v75                                      // 00000000F664: 7E0C034B
	s_mov_b64 s[60:61], 0                                      // 00000000F668: BEBC0180
	v_readlane_b32 s82, v3, 10                                 // 00000000F66C: D2890052 00011503
	s_and_b32 s82, s82, 0xffffff                               // 00000000F674: 8652FF52 00FFFFFF
	s_cmp_lt_u32 s82, s66                                      // 00000000F67C: BF0A4252
	s_cselect_b32 s20, s36, s60                                // 00000000F680: 85143C24
	v_readlane_b32 s82, v3, 11                                 // 00000000F684: D2890052 00011703
	s_and_b32 s82, s82, 0xffffff                               // 00000000F68C: 8652FF52 00FFFFFF
	s_cmp_lt_u32 s82, s66                                      // 00000000F694: BF0A4252
	s_cselect_b32 s21, s36, s60                                // 00000000F698: 85153C24
	s_mov_b64 exec, s[20:21]                                   // 00000000F69C: BEFE0114
	global_atomic_add_f32 v6, v143, s[8:9] offset:8            // 00000000F6A0: DD348008 00088F06
	s_mov_b64 exec, s[36:37]                                   // 00000000F6A8: BEFE0124
	v_mov_b32_e32 v6, v76                                      // 00000000F6AC: 7E0C034C
	s_mov_b64 s[60:61], 0                                      // 00000000F6B0: BEBC0180
	v_readlane_b32 s82, v3, 12                                 // 00000000F6B4: D2890052 00011903
	s_and_b32 s82, s82, 0xffffff                               // 00000000F6BC: 8652FF52 00FFFFFF
	s_cmp_lt_u32 s82, s66                                      // 00000000F6C4: BF0A4252
	s_cselect_b32 s20, s36, s60                                // 00000000F6C8: 85143C24
	v_readlane_b32 s82, v3, 13                                 // 00000000F6CC: D2890052 00011B03
	s_and_b32 s82, s82, 0xffffff                               // 00000000F6D4: 8652FF52 00FFFFFF
	s_cmp_lt_u32 s82, s66                                      // 00000000F6DC: BF0A4252
	s_cselect_b32 s21, s36, s60                                // 00000000F6E0: 85153C24
	s_mov_b64 exec, s[20:21]                                   // 00000000F6E4: BEFE0114
	global_atomic_add_f32 v6, v146, s[8:9] offset:8            // 00000000F6E8: DD348008 00089206
	s_mov_b64 exec, s[36:37]                                   // 00000000F6F0: BEFE0124
	v_mov_b32_e32 v6, v77                                      // 00000000F6F4: 7E0C034D
	s_mov_b64 s[60:61], 0                                      // 00000000F6F8: BEBC0180
	v_readlane_b32 s82, v3, 14                                 // 00000000F6FC: D2890052 00011D03
	s_and_b32 s82, s82, 0xffffff                               // 00000000F704: 8652FF52 00FFFFFF
	s_cmp_lt_u32 s82, s66                                      // 00000000F70C: BF0A4252
	s_cselect_b32 s20, s36, s60                                // 00000000F710: 85143C24
	v_readlane_b32 s82, v3, 15                                 // 00000000F714: D2890052 00011F03
	s_and_b32 s82, s82, 0xffffff                               // 00000000F71C: 8652FF52 00FFFFFF
	s_cmp_lt_u32 s82, s66                                      // 00000000F724: BF0A4252
	s_cselect_b32 s21, s36, s60                                // 00000000F728: 85153C24
	s_mov_b64 exec, s[20:21]                                   // 00000000F72C: BEFE0114
	global_atomic_add_f32 v6, v147, s[8:9] offset:8            // 00000000F730: DD348008 00089306
	s_mov_b64 exec, s[36:37]                                   // 00000000F738: BEFE0124
	v_mov_b32_e32 v6, v78                                      // 00000000F73C: 7E0C034E
	s_mov_b64 s[60:61], 0                                      // 00000000F740: BEBC0180
	v_readlane_b32 s82, v3, 16                                 // 00000000F744: D2890052 00012103
	s_and_b32 s82, s82, 0xffffff                               // 00000000F74C: 8652FF52 00FFFFFF
	s_cmp_lt_u32 s82, s66                                      // 00000000F754: BF0A4252
	s_cselect_b32 s20, s36, s60                                // 00000000F758: 85143C24
	v_readlane_b32 s82, v3, 17                                 // 00000000F75C: D2890052 00012303
	s_and_b32 s82, s82, 0xffffff                               // 00000000F764: 8652FF52 00FFFFFF
	s_cmp_lt_u32 s82, s66                                      // 00000000F76C: BF0A4252
	s_cselect_b32 s21, s36, s60                                // 00000000F770: 85153C24
	s_mov_b64 exec, s[20:21]                                   // 00000000F774: BEFE0114
	global_atomic_add_f32 v6, v150, s[8:9] offset:8            // 00000000F778: DD348008 00089606
	s_mov_b64 exec, s[36:37]                                   // 00000000F780: BEFE0124
	v_mov_b32_e32 v6, v79                                      // 00000000F784: 7E0C034F
	s_mov_b64 s[60:61], 0                                      // 00000000F788: BEBC0180
	v_readlane_b32 s82, v3, 18                                 // 00000000F78C: D2890052 00012503
	s_and_b32 s82, s82, 0xffffff                               // 00000000F794: 8652FF52 00FFFFFF
	s_cmp_lt_u32 s82, s66                                      // 00000000F79C: BF0A4252
	s_cselect_b32 s20, s36, s60                                // 00000000F7A0: 85143C24
	v_readlane_b32 s82, v3, 19                                 // 00000000F7A4: D2890052 00012703
	s_and_b32 s82, s82, 0xffffff                               // 00000000F7AC: 8652FF52 00FFFFFF
	s_cmp_lt_u32 s82, s66                                      // 00000000F7B4: BF0A4252
	s_cselect_b32 s21, s36, s60                                // 00000000F7B8: 85153C24
	s_mov_b64 exec, s[20:21]                                   // 00000000F7BC: BEFE0114
	global_atomic_add_f32 v6, v151, s[8:9] offset:8            // 00000000F7C0: DD348008 00089706
	s_mov_b64 exec, s[36:37]                                   // 00000000F7C8: BEFE0124
	v_mov_b32_e32 v6, v80                                      // 00000000F7CC: 7E0C0350
	s_mov_b64 s[60:61], 0                                      // 00000000F7D0: BEBC0180
	v_readlane_b32 s82, v3, 20                                 // 00000000F7D4: D2890052 00012903
	s_and_b32 s82, s82, 0xffffff                               // 00000000F7DC: 8652FF52 00FFFFFF
	s_cmp_lt_u32 s82, s66                                      // 00000000F7E4: BF0A4252
	s_cselect_b32 s20, s36, s60                                // 00000000F7E8: 85143C24
	v_readlane_b32 s82, v3, 21                                 // 00000000F7EC: D2890052 00012B03
	s_and_b32 s82, s82, 0xffffff                               // 00000000F7F4: 8652FF52 00FFFFFF
	s_cmp_lt_u32 s82, s66                                      // 00000000F7FC: BF0A4252
	s_cselect_b32 s21, s36, s60                                // 00000000F800: 85153C24
	s_mov_b64 exec, s[20:21]                                   // 00000000F804: BEFE0114
	global_atomic_add_f32 v6, v154, s[8:9] offset:8            // 00000000F808: DD348008 00089A06
	s_mov_b64 exec, s[36:37]                                   // 00000000F810: BEFE0124
	v_mov_b32_e32 v6, v81                                      // 00000000F814: 7E0C0351
	s_mov_b64 s[60:61], 0                                      // 00000000F818: BEBC0180
	v_readlane_b32 s82, v3, 22                                 // 00000000F81C: D2890052 00012D03
	s_and_b32 s82, s82, 0xffffff                               // 00000000F824: 8652FF52 00FFFFFF
	s_cmp_lt_u32 s82, s66                                      // 00000000F82C: BF0A4252
	s_cselect_b32 s20, s36, s60                                // 00000000F830: 85143C24
	v_readlane_b32 s82, v3, 23                                 // 00000000F834: D2890052 00012F03
	s_and_b32 s82, s82, 0xffffff                               // 00000000F83C: 8652FF52 00FFFFFF
	s_cmp_lt_u32 s82, s66                                      // 00000000F844: BF0A4252
	s_cselect_b32 s21, s36, s60                                // 00000000F848: 85153C24
	s_mov_b64 exec, s[20:21]                                   // 00000000F84C: BEFE0114
	global_atomic_add_f32 v6, v155, s[8:9] offset:8            // 00000000F850: DD348008 00089B06
	s_mov_b64 exec, s[36:37]                                   // 00000000F858: BEFE0124
	v_mov_b32_e32 v6, v82                                      // 00000000F85C: 7E0C0352
	s_mov_b64 s[60:61], 0                                      // 00000000F860: BEBC0180
	v_readlane_b32 s82, v3, 24                                 // 00000000F864: D2890052 00013103
	s_and_b32 s82, s82, 0xffffff                               // 00000000F86C: 8652FF52 00FFFFFF
	s_cmp_lt_u32 s82, s66                                      // 00000000F874: BF0A4252
	s_cselect_b32 s20, s36, s60                                // 00000000F878: 85143C24
	v_readlane_b32 s82, v3, 25                                 // 00000000F87C: D2890052 00013303
	s_and_b32 s82, s82, 0xffffff                               // 00000000F884: 8652FF52 00FFFFFF
	s_cmp_lt_u32 s82, s66                                      // 00000000F88C: BF0A4252
	s_cselect_b32 s21, s36, s60                                // 00000000F890: 85153C24
	s_mov_b64 exec, s[20:21]                                   // 00000000F894: BEFE0114
	global_atomic_add_f32 v6, v158, s[8:9] offset:8            // 00000000F898: DD348008 00089E06
	s_mov_b64 exec, s[36:37]                                   // 00000000F8A0: BEFE0124
	v_mov_b32_e32 v6, v83                                      // 00000000F8A4: 7E0C0353
	s_mov_b64 s[60:61], 0                                      // 00000000F8A8: BEBC0180
	v_readlane_b32 s82, v3, 26                                 // 00000000F8AC: D2890052 00013503
	s_and_b32 s82, s82, 0xffffff                               // 00000000F8B4: 8652FF52 00FFFFFF
	s_cmp_lt_u32 s82, s66                                      // 00000000F8BC: BF0A4252
	s_cselect_b32 s20, s36, s60                                // 00000000F8C0: 85143C24
	v_readlane_b32 s82, v3, 27                                 // 00000000F8C4: D2890052 00013703
	s_and_b32 s82, s82, 0xffffff                               // 00000000F8CC: 8652FF52 00FFFFFF
	s_cmp_lt_u32 s82, s66                                      // 00000000F8D4: BF0A4252
	s_cselect_b32 s21, s36, s60                                // 00000000F8D8: 85153C24
	s_mov_b64 exec, s[20:21]                                   // 00000000F8DC: BEFE0114
	global_atomic_add_f32 v6, v159, s[8:9] offset:8            // 00000000F8E0: DD348008 00089F06
	s_mov_b64 exec, s[36:37]                                   // 00000000F8E8: BEFE0124
	v_mov_b32_e32 v6, v84                                      // 00000000F8EC: 7E0C0354
	s_mov_b64 s[60:61], 0                                      // 00000000F8F0: BEBC0180
	v_readlane_b32 s82, v3, 28                                 // 00000000F8F4: D2890052 00013903
	s_and_b32 s82, s82, 0xffffff                               // 00000000F8FC: 8652FF52 00FFFFFF
	s_cmp_lt_u32 s82, s66                                      // 00000000F904: BF0A4252
	s_cselect_b32 s20, s36, s60                                // 00000000F908: 85143C24
	v_readlane_b32 s82, v3, 29                                 // 00000000F90C: D2890052 00013B03
	s_and_b32 s82, s82, 0xffffff                               // 00000000F914: 8652FF52 00FFFFFF
	s_cmp_lt_u32 s82, s66                                      // 00000000F91C: BF0A4252
	s_cselect_b32 s21, s36, s60                                // 00000000F920: 85153C24
	s_mov_b64 exec, s[20:21]                                   // 00000000F924: BEFE0114
	global_atomic_add_f32 v6, v162, s[8:9] offset:8            // 00000000F928: DD348008 0008A206
	s_mov_b64 exec, s[36:37]                                   // 00000000F930: BEFE0124
	v_mov_b32_e32 v6, v85                                      // 00000000F934: 7E0C0355
	s_mov_b64 s[60:61], 0                                      // 00000000F938: BEBC0180
	v_readlane_b32 s82, v3, 30                                 // 00000000F93C: D2890052 00013D03
	s_and_b32 s82, s82, 0xffffff                               // 00000000F944: 8652FF52 00FFFFFF
	s_cmp_lt_u32 s82, s66                                      // 00000000F94C: BF0A4252
	s_cselect_b32 s20, s36, s60                                // 00000000F950: 85143C24
	v_readlane_b32 s82, v3, 31                                 // 00000000F954: D2890052 00013F03
	s_and_b32 s82, s82, 0xffffff                               // 00000000F95C: 8652FF52 00FFFFFF
	s_cmp_lt_u32 s82, s66                                      // 00000000F964: BF0A4252
	s_cselect_b32 s21, s36, s60                                // 00000000F968: 85153C24
	s_mov_b64 exec, s[20:21]                                   // 00000000F96C: BEFE0114
	global_atomic_add_f32 v6, v163, s[8:9] offset:8            // 00000000F970: DD348008 0008A306
	s_mov_b64 exec, s[36:37]                                   // 00000000F978: BEFE0124
	v_mov_b32_e32 v6, v86                                      // 00000000F97C: 7E0C0356
	s_mov_b64 s[60:61], 0                                      // 00000000F980: BEBC0180
	v_readlane_b32 s82, v3, 32                                 // 00000000F984: D2890052 00014103
	s_and_b32 s82, s82, 0xffffff                               // 00000000F98C: 8652FF52 00FFFFFF
	s_cmp_lt_u32 s82, s66                                      // 00000000F994: BF0A4252
	s_cselect_b32 s20, s36, s60                                // 00000000F998: 85143C24
	v_readlane_b32 s82, v3, 33                                 // 00000000F99C: D2890052 00014303
	s_and_b32 s82, s82, 0xffffff                               // 00000000F9A4: 8652FF52 00FFFFFF
	s_cmp_lt_u32 s82, s66                                      // 00000000F9AC: BF0A4252
	s_cselect_b32 s21, s36, s60                                // 00000000F9B0: 85153C24
	s_mov_b64 exec, s[20:21]                                   // 00000000F9B4: BEFE0114
	global_atomic_add_f32 v6, v166, s[8:9] offset:8            // 00000000F9B8: DD348008 0008A606
	s_mov_b64 exec, s[36:37]                                   // 00000000F9C0: BEFE0124
	v_mov_b32_e32 v6, v87                                      // 00000000F9C4: 7E0C0357
	s_mov_b64 s[60:61], 0                                      // 00000000F9C8: BEBC0180
	v_readlane_b32 s82, v3, 34                                 // 00000000F9CC: D2890052 00014503
	s_and_b32 s82, s82, 0xffffff                               // 00000000F9D4: 8652FF52 00FFFFFF
	s_cmp_lt_u32 s82, s66                                      // 00000000F9DC: BF0A4252
	s_cselect_b32 s20, s36, s60                                // 00000000F9E0: 85143C24
	v_readlane_b32 s82, v3, 35                                 // 00000000F9E4: D2890052 00014703
	s_and_b32 s82, s82, 0xffffff                               // 00000000F9EC: 8652FF52 00FFFFFF
	s_cmp_lt_u32 s82, s66                                      // 00000000F9F4: BF0A4252
	s_cselect_b32 s21, s36, s60                                // 00000000F9F8: 85153C24
	s_mov_b64 exec, s[20:21]                                   // 00000000F9FC: BEFE0114
	global_atomic_add_f32 v6, v167, s[8:9] offset:8            // 00000000FA00: DD348008 0008A706
	s_mov_b64 exec, s[36:37]                                   // 00000000FA08: BEFE0124
	v_mov_b32_e32 v6, v88                                      // 00000000FA0C: 7E0C0358
	s_mov_b64 s[60:61], 0                                      // 00000000FA10: BEBC0180
	v_readlane_b32 s82, v3, 36                                 // 00000000FA14: D2890052 00014903
	s_and_b32 s82, s82, 0xffffff                               // 00000000FA1C: 8652FF52 00FFFFFF
	s_cmp_lt_u32 s82, s66                                      // 00000000FA24: BF0A4252
	s_cselect_b32 s20, s36, s60                                // 00000000FA28: 85143C24
	v_readlane_b32 s82, v3, 37                                 // 00000000FA2C: D2890052 00014B03
	s_and_b32 s82, s82, 0xffffff                               // 00000000FA34: 8652FF52 00FFFFFF
	s_cmp_lt_u32 s82, s66                                      // 00000000FA3C: BF0A4252
	s_cselect_b32 s21, s36, s60                                // 00000000FA40: 85153C24
	s_mov_b64 exec, s[20:21]                                   // 00000000FA44: BEFE0114
	global_atomic_add_f32 v6, v170, s[8:9] offset:8            // 00000000FA48: DD348008 0008AA06
	s_mov_b64 exec, s[36:37]                                   // 00000000FA50: BEFE0124
	v_mov_b32_e32 v6, v89                                      // 00000000FA54: 7E0C0359
	s_mov_b64 s[60:61], 0                                      // 00000000FA58: BEBC0180
	v_readlane_b32 s82, v3, 38                                 // 00000000FA5C: D2890052 00014D03
	s_and_b32 s82, s82, 0xffffff                               // 00000000FA64: 8652FF52 00FFFFFF
	s_cmp_lt_u32 s82, s66                                      // 00000000FA6C: BF0A4252
	s_cselect_b32 s20, s36, s60                                // 00000000FA70: 85143C24
	v_readlane_b32 s82, v3, 39                                 // 00000000FA74: D2890052 00014F03
	s_and_b32 s82, s82, 0xffffff                               // 00000000FA7C: 8652FF52 00FFFFFF
	s_cmp_lt_u32 s82, s66                                      // 00000000FA84: BF0A4252
	s_cselect_b32 s21, s36, s60                                // 00000000FA88: 85153C24
	s_mov_b64 exec, s[20:21]                                   // 00000000FA8C: BEFE0114
	global_atomic_add_f32 v6, v171, s[8:9] offset:8            // 00000000FA90: DD348008 0008AB06
	s_mov_b64 exec, s[36:37]                                   // 00000000FA98: BEFE0124
	s_branch label_342B                                        // 00000000FA9C: BF820000

000000000000faa0 <label_342B>:
	s_waitcnt vmcnt(0) expcnt(0) lgkmcnt(0)                    // 00000000FAA0: BF8C0000
	s_endpgm                                                   // 00000000FAA4: BF810000
